;; amdgpu-corpus repo=ROCm/rocFFT kind=compiled arch=gfx906 opt=O3
	.text
	.amdgcn_target "amdgcn-amd-amdhsa--gfx906"
	.amdhsa_code_object_version 6
	.protected	fft_rtc_fwd_len1768_factors_17_13_8_wgs_136_tpt_136_halfLds_half_op_CI_CI_unitstride_sbrr_C2R_dirReg ; -- Begin function fft_rtc_fwd_len1768_factors_17_13_8_wgs_136_tpt_136_halfLds_half_op_CI_CI_unitstride_sbrr_C2R_dirReg
	.globl	fft_rtc_fwd_len1768_factors_17_13_8_wgs_136_tpt_136_halfLds_half_op_CI_CI_unitstride_sbrr_C2R_dirReg
	.p2align	8
	.type	fft_rtc_fwd_len1768_factors_17_13_8_wgs_136_tpt_136_halfLds_half_op_CI_CI_unitstride_sbrr_C2R_dirReg,@function
fft_rtc_fwd_len1768_factors_17_13_8_wgs_136_tpt_136_halfLds_half_op_CI_CI_unitstride_sbrr_C2R_dirReg: ; @fft_rtc_fwd_len1768_factors_17_13_8_wgs_136_tpt_136_halfLds_half_op_CI_CI_unitstride_sbrr_C2R_dirReg
; %bb.0:
	s_load_dwordx4 s[8:11], s[4:5], 0x58
	s_load_dwordx4 s[12:15], s[4:5], 0x0
	;; [unrolled: 1-line block ×3, first 2 shown]
	v_mul_u32_u24_e32 v1, 0x1e2, v0
	v_mov_b32_e32 v8, 0
	v_mov_b32_e32 v6, 0
	s_waitcnt lgkmcnt(0)
	v_cmp_lt_u64_e64 s[0:1], s[14:15], 2
	v_add_u32_sdwa v10, s6, v1 dst_sel:DWORD dst_unused:UNUSED_PAD src0_sel:DWORD src1_sel:WORD_1
	v_mov_b32_e32 v11, v8
	s_and_b64 vcc, exec, s[0:1]
	v_mov_b32_e32 v7, 0
	s_cbranch_vccnz .LBB0_8
; %bb.1:
	s_load_dwordx2 s[0:1], s[4:5], 0x10
	s_add_u32 s2, s18, 8
	s_addc_u32 s3, s19, 0
	s_add_u32 s6, s16, 8
	s_addc_u32 s7, s17, 0
	v_mov_b32_e32 v6, 0
	s_waitcnt lgkmcnt(0)
	s_add_u32 s20, s0, 8
	v_mov_b32_e32 v7, 0
	v_mov_b32_e32 v1, v6
	s_addc_u32 s21, s1, 0
	s_mov_b64 s[22:23], 1
	v_mov_b32_e32 v2, v7
.LBB0_2:                                ; =>This Inner Loop Header: Depth=1
	s_load_dwordx2 s[24:25], s[20:21], 0x0
                                        ; implicit-def: $vgpr3_vgpr4
	s_waitcnt lgkmcnt(0)
	v_or_b32_e32 v9, s25, v11
	v_cmp_ne_u64_e32 vcc, 0, v[8:9]
	s_and_saveexec_b64 s[0:1], vcc
	s_xor_b64 s[26:27], exec, s[0:1]
	s_cbranch_execz .LBB0_4
; %bb.3:                                ;   in Loop: Header=BB0_2 Depth=1
	v_cvt_f32_u32_e32 v3, s24
	v_cvt_f32_u32_e32 v4, s25
	s_sub_u32 s0, 0, s24
	s_subb_u32 s1, 0, s25
	v_mac_f32_e32 v3, 0x4f800000, v4
	v_rcp_f32_e32 v3, v3
	v_mul_f32_e32 v3, 0x5f7ffffc, v3
	v_mul_f32_e32 v4, 0x2f800000, v3
	v_trunc_f32_e32 v4, v4
	v_mac_f32_e32 v3, 0xcf800000, v4
	v_cvt_u32_f32_e32 v4, v4
	v_cvt_u32_f32_e32 v3, v3
	v_mul_lo_u32 v5, s0, v4
	v_mul_hi_u32 v9, s0, v3
	v_mul_lo_u32 v13, s1, v3
	v_mul_lo_u32 v12, s0, v3
	v_add_u32_e32 v5, v9, v5
	v_add_u32_e32 v5, v5, v13
	v_mul_hi_u32 v9, v3, v12
	v_mul_lo_u32 v13, v3, v5
	v_mul_hi_u32 v15, v3, v5
	v_mul_hi_u32 v14, v4, v12
	v_mul_lo_u32 v12, v4, v12
	v_mul_hi_u32 v16, v4, v5
	v_add_co_u32_e32 v9, vcc, v9, v13
	v_addc_co_u32_e32 v13, vcc, 0, v15, vcc
	v_mul_lo_u32 v5, v4, v5
	v_add_co_u32_e32 v9, vcc, v9, v12
	v_addc_co_u32_e32 v9, vcc, v13, v14, vcc
	v_addc_co_u32_e32 v12, vcc, 0, v16, vcc
	v_add_co_u32_e32 v5, vcc, v9, v5
	v_addc_co_u32_e32 v9, vcc, 0, v12, vcc
	v_add_co_u32_e32 v3, vcc, v3, v5
	v_addc_co_u32_e32 v4, vcc, v4, v9, vcc
	v_mul_lo_u32 v5, s0, v4
	v_mul_hi_u32 v9, s0, v3
	v_mul_lo_u32 v12, s1, v3
	v_mul_lo_u32 v13, s0, v3
	v_add_u32_e32 v5, v9, v5
	v_add_u32_e32 v5, v5, v12
	v_mul_lo_u32 v14, v3, v5
	v_mul_hi_u32 v15, v3, v13
	v_mul_hi_u32 v16, v3, v5
	v_mul_hi_u32 v12, v4, v13
	v_mul_lo_u32 v13, v4, v13
	v_mul_hi_u32 v9, v4, v5
	v_add_co_u32_e32 v14, vcc, v15, v14
	v_addc_co_u32_e32 v15, vcc, 0, v16, vcc
	v_mul_lo_u32 v5, v4, v5
	v_add_co_u32_e32 v13, vcc, v14, v13
	v_addc_co_u32_e32 v12, vcc, v15, v12, vcc
	v_addc_co_u32_e32 v9, vcc, 0, v9, vcc
	v_add_co_u32_e32 v5, vcc, v12, v5
	v_addc_co_u32_e32 v9, vcc, 0, v9, vcc
	v_add_co_u32_e32 v5, vcc, v3, v5
	v_addc_co_u32_e32 v9, vcc, v4, v9, vcc
	v_mad_u64_u32 v[3:4], s[0:1], v10, v9, 0
	v_mul_hi_u32 v12, v10, v5
	v_add_co_u32_e32 v14, vcc, v12, v3
	v_addc_co_u32_e32 v15, vcc, 0, v4, vcc
	v_mad_u64_u32 v[3:4], s[0:1], v11, v5, 0
	v_mad_u64_u32 v[12:13], s[0:1], v11, v9, 0
	v_add_co_u32_e32 v3, vcc, v14, v3
	v_addc_co_u32_e32 v3, vcc, v15, v4, vcc
	v_addc_co_u32_e32 v4, vcc, 0, v13, vcc
	v_add_co_u32_e32 v5, vcc, v3, v12
	v_addc_co_u32_e32 v9, vcc, 0, v4, vcc
	v_mul_lo_u32 v12, s25, v5
	v_mul_lo_u32 v13, s24, v9
	v_mad_u64_u32 v[3:4], s[0:1], s24, v5, 0
	v_add3_u32 v4, v4, v13, v12
	v_sub_u32_e32 v12, v11, v4
	v_mov_b32_e32 v13, s25
	v_sub_co_u32_e32 v3, vcc, v10, v3
	v_subb_co_u32_e64 v12, s[0:1], v12, v13, vcc
	v_subrev_co_u32_e64 v13, s[0:1], s24, v3
	v_subbrev_co_u32_e64 v12, s[0:1], 0, v12, s[0:1]
	v_cmp_le_u32_e64 s[0:1], s25, v12
	v_cndmask_b32_e64 v14, 0, -1, s[0:1]
	v_cmp_le_u32_e64 s[0:1], s24, v13
	v_cndmask_b32_e64 v13, 0, -1, s[0:1]
	v_cmp_eq_u32_e64 s[0:1], s25, v12
	v_cndmask_b32_e64 v12, v14, v13, s[0:1]
	v_add_co_u32_e64 v13, s[0:1], 2, v5
	v_addc_co_u32_e64 v14, s[0:1], 0, v9, s[0:1]
	v_add_co_u32_e64 v15, s[0:1], 1, v5
	v_addc_co_u32_e64 v16, s[0:1], 0, v9, s[0:1]
	v_subb_co_u32_e32 v4, vcc, v11, v4, vcc
	v_cmp_ne_u32_e64 s[0:1], 0, v12
	v_cmp_le_u32_e32 vcc, s25, v4
	v_cndmask_b32_e64 v12, v16, v14, s[0:1]
	v_cndmask_b32_e64 v14, 0, -1, vcc
	v_cmp_le_u32_e32 vcc, s24, v3
	v_cndmask_b32_e64 v3, 0, -1, vcc
	v_cmp_eq_u32_e32 vcc, s25, v4
	v_cndmask_b32_e32 v3, v14, v3, vcc
	v_cmp_ne_u32_e32 vcc, 0, v3
	v_cndmask_b32_e64 v3, v15, v13, s[0:1]
	v_cndmask_b32_e32 v4, v9, v12, vcc
	v_cndmask_b32_e32 v3, v5, v3, vcc
.LBB0_4:                                ;   in Loop: Header=BB0_2 Depth=1
	s_andn2_saveexec_b64 s[0:1], s[26:27]
	s_cbranch_execz .LBB0_6
; %bb.5:                                ;   in Loop: Header=BB0_2 Depth=1
	v_cvt_f32_u32_e32 v3, s24
	s_sub_i32 s26, 0, s24
	v_rcp_iflag_f32_e32 v3, v3
	v_mul_f32_e32 v3, 0x4f7ffffe, v3
	v_cvt_u32_f32_e32 v3, v3
	v_mul_lo_u32 v4, s26, v3
	v_mul_hi_u32 v4, v3, v4
	v_add_u32_e32 v3, v3, v4
	v_mul_hi_u32 v3, v10, v3
	v_mul_lo_u32 v4, v3, s24
	v_add_u32_e32 v5, 1, v3
	v_sub_u32_e32 v4, v10, v4
	v_subrev_u32_e32 v9, s24, v4
	v_cmp_le_u32_e32 vcc, s24, v4
	v_cndmask_b32_e32 v4, v4, v9, vcc
	v_cndmask_b32_e32 v3, v3, v5, vcc
	v_add_u32_e32 v5, 1, v3
	v_cmp_le_u32_e32 vcc, s24, v4
	v_cndmask_b32_e32 v3, v3, v5, vcc
	v_mov_b32_e32 v4, v8
.LBB0_6:                                ;   in Loop: Header=BB0_2 Depth=1
	s_or_b64 exec, exec, s[0:1]
	v_mul_lo_u32 v5, v4, s24
	v_mul_lo_u32 v9, v3, s25
	v_mad_u64_u32 v[12:13], s[0:1], v3, s24, 0
	s_load_dwordx2 s[0:1], s[6:7], 0x0
	s_load_dwordx2 s[24:25], s[2:3], 0x0
	v_add3_u32 v5, v13, v9, v5
	v_sub_co_u32_e32 v9, vcc, v10, v12
	v_subb_co_u32_e32 v5, vcc, v11, v5, vcc
	s_waitcnt lgkmcnt(0)
	v_mul_lo_u32 v10, s0, v5
	v_mul_lo_u32 v11, s1, v9
	v_mad_u64_u32 v[6:7], s[0:1], s0, v9, v[6:7]
	s_add_u32 s22, s22, 1
	s_addc_u32 s23, s23, 0
	s_add_u32 s2, s2, 8
	v_mul_lo_u32 v5, s24, v5
	v_mul_lo_u32 v12, s25, v9
	v_mad_u64_u32 v[1:2], s[0:1], s24, v9, v[1:2]
	v_add3_u32 v7, v11, v7, v10
	s_addc_u32 s3, s3, 0
	v_mov_b32_e32 v9, s14
	s_add_u32 s6, s6, 8
	v_mov_b32_e32 v10, s15
	s_addc_u32 s7, s7, 0
	v_cmp_ge_u64_e32 vcc, s[22:23], v[9:10]
	s_add_u32 s20, s20, 8
	v_add3_u32 v2, v12, v2, v5
	s_addc_u32 s21, s21, 0
	s_cbranch_vccnz .LBB0_9
; %bb.7:                                ;   in Loop: Header=BB0_2 Depth=1
	v_mov_b32_e32 v11, v4
	v_mov_b32_e32 v10, v3
	s_branch .LBB0_2
.LBB0_8:
	v_mov_b32_e32 v1, v6
	v_mov_b32_e32 v3, v10
	;; [unrolled: 1-line block ×4, first 2 shown]
.LBB0_9:
	s_load_dwordx2 s[4:5], s[4:5], 0x28
	s_lshl_b64 s[6:7], s[14:15], 3
	s_add_u32 s2, s18, s6
	s_addc_u32 s3, s19, s7
                                        ; implicit-def: $vgpr5
	s_waitcnt lgkmcnt(0)
	v_cmp_gt_u64_e64 s[0:1], s[4:5], v[3:4]
	v_cmp_le_u64_e32 vcc, s[4:5], v[3:4]
	s_and_saveexec_b64 s[4:5], vcc
	s_xor_b64 s[4:5], exec, s[4:5]
; %bb.10:
	s_mov_b32 s14, 0x1e1e1e2
	v_mul_hi_u32 v5, v0, s14
                                        ; implicit-def: $vgpr6_vgpr7
	v_mul_u32_u24_e32 v5, 0x88, v5
	v_sub_u32_e32 v5, v0, v5
                                        ; implicit-def: $vgpr0
; %bb.11:
	s_or_saveexec_b64 s[4:5], s[4:5]
	s_load_dwordx2 s[2:3], s[2:3], 0x0
	s_xor_b64 exec, exec, s[4:5]
	s_cbranch_execz .LBB0_15
; %bb.12:
	s_add_u32 s6, s16, s6
	s_addc_u32 s7, s17, s7
	s_load_dwordx2 s[6:7], s[6:7], 0x0
	s_mov_b32 s14, 0x1e1e1e2
	v_mul_hi_u32 v5, v0, s14
	v_lshlrev_b64 v[6:7], 2, v[6:7]
	s_waitcnt lgkmcnt(0)
	v_mul_lo_u32 v10, s7, v3
	v_mul_lo_u32 v11, s6, v4
	v_mad_u64_u32 v[8:9], s[6:7], s6, v3, 0
	v_mul_u32_u24_e32 v5, 0x88, v5
	v_sub_u32_e32 v5, v0, v5
	v_add3_u32 v9, v9, v11, v10
	v_lshlrev_b64 v[8:9], 2, v[8:9]
	v_mov_b32_e32 v0, s9
	v_add_co_u32_e32 v8, vcc, s8, v8
	v_addc_co_u32_e32 v0, vcc, v0, v9, vcc
	v_add_co_u32_e32 v6, vcc, v8, v6
	v_addc_co_u32_e32 v0, vcc, v0, v7, vcc
	v_lshlrev_b32_e32 v9, 2, v5
	v_add_co_u32_e32 v7, vcc, v6, v9
	v_addc_co_u32_e32 v8, vcc, 0, v0, vcc
	s_movk_i32 s6, 0x1000
	global_load_dword v10, v[7:8], off
	global_load_dword v11, v[7:8], off offset:1632
	global_load_dword v12, v[7:8], off offset:2176
	;; [unrolled: 1-line block ×7, first 2 shown]
	v_add_co_u32_e32 v7, vcc, s6, v7
	v_addc_co_u32_e32 v8, vcc, 0, v8, vcc
	global_load_dword v18, v[7:8], off offset:256
	global_load_dword v19, v[7:8], off offset:800
	global_load_dword v20, v[7:8], off offset:1344
	global_load_dword v21, v[7:8], off offset:1888
	global_load_dword v22, v[7:8], off offset:2432
	s_movk_i32 s6, 0x87
	v_add_u32_e32 v7, 0, v9
	v_add_u32_e32 v8, 0x400, v7
	v_cmp_eq_u32_e32 vcc, s6, v5
	v_add_u32_e32 v9, 0x800, v7
	v_add_u32_e32 v23, 0xc00, v7
	;; [unrolled: 1-line block ×4, first 2 shown]
	s_waitcnt vmcnt(6)
	ds_write2_b32 v8, v16, v11 offset0:16 offset1:152
	s_waitcnt vmcnt(5)
	ds_write2_b32 v7, v10, v17 offset1:136
	ds_write2_b32 v9, v12, v13 offset0:32 offset1:168
	ds_write2_b32 v23, v14, v15 offset0:48 offset1:184
	s_waitcnt vmcnt(3)
	ds_write2_b32 v24, v18, v19 offset0:64 offset1:200
	s_waitcnt vmcnt(1)
	;; [unrolled: 2-line block ×3, first 2 shown]
	ds_write_b32 v7, v22 offset:6528
	s_and_saveexec_b64 s[6:7], vcc
	s_cbranch_execz .LBB0_14
; %bb.13:
	v_add_co_u32_e32 v5, vcc, 0x1000, v6
	v_addc_co_u32_e32 v6, vcc, 0, v0, vcc
	global_load_dword v0, v[5:6], off offset:2976
	v_mov_b32_e32 v5, 0
	s_waitcnt vmcnt(0)
	ds_write_b32 v5, v0 offset:7072
	v_mov_b32_e32 v5, 0x87
.LBB0_14:
	s_or_b64 exec, exec, s[6:7]
.LBB0_15:
	s_or_b64 exec, exec, s[4:5]
	v_lshlrev_b32_e32 v6, 2, v5
	v_add_u32_e32 v0, 0, v6
	s_waitcnt lgkmcnt(0)
	s_barrier
	v_sub_u32_e32 v8, 0, v6
	ds_read_u16 v11, v0
	ds_read_u16 v12, v8 offset:7072
	s_add_u32 s6, s12, 0x1b5c
	s_addc_u32 s7, s13, 0
	v_cmp_ne_u32_e32 vcc, 0, v5
                                        ; implicit-def: $vgpr6_vgpr7
	s_waitcnt lgkmcnt(0)
	v_add_f16_e32 v9, v12, v11
	v_sub_f16_e32 v10, v11, v12
	s_and_saveexec_b64 s[4:5], vcc
	s_xor_b64 s[4:5], exec, s[4:5]
	s_cbranch_execz .LBB0_17
; %bb.16:
	v_mov_b32_e32 v6, 0
	v_lshlrev_b64 v[9:10], 2, v[5:6]
	v_mov_b32_e32 v7, s7
	v_add_co_u32_e32 v9, vcc, s6, v9
	v_addc_co_u32_e32 v10, vcc, v7, v10, vcc
	global_load_dword v7, v[9:10], off
	ds_read_u16 v9, v8 offset:7074
	ds_read_u16 v10, v0 offset:2
	v_add_f16_e32 v13, v12, v11
	v_sub_f16_e32 v11, v11, v12
	s_waitcnt lgkmcnt(0)
	v_add_f16_e32 v12, v9, v10
	v_sub_f16_e32 v9, v10, v9
	s_waitcnt vmcnt(0)
	v_lshrrev_b32_e32 v10, 16, v7
	v_fma_f16 v14, v11, v10, v13
	v_fma_f16 v15, v12, v10, v9
	v_fma_f16 v13, -v11, v10, v13
	v_fma_f16 v16, v12, v10, -v9
	v_fma_f16 v9, -v7, v12, v14
	v_fma_f16 v10, v11, v7, v15
	v_fma_f16 v12, v7, v12, v13
	;; [unrolled: 1-line block ×3, first 2 shown]
	v_pack_b32_f16 v7, v12, v7
	ds_write_b32 v8, v7 offset:7072
	v_mov_b32_e32 v7, v6
	v_mov_b32_e32 v6, v5
.LBB0_17:
	s_andn2_saveexec_b64 s[4:5], s[4:5]
	s_cbranch_execz .LBB0_19
; %bb.18:
	v_mov_b32_e32 v11, 0
	ds_read_b32 v6, v11 offset:3536
	s_mov_b32 s8, 0xc0004000
	s_waitcnt lgkmcnt(0)
	v_pk_mul_f16 v12, v6, s8
	v_mov_b32_e32 v6, 0
	v_mov_b32_e32 v7, 0
	ds_write_b32 v11, v12 offset:3536
.LBB0_19:
	s_or_b64 exec, exec, s[4:5]
	v_lshlrev_b64 v[6:7], 2, v[6:7]
	v_mov_b32_e32 v11, s7
	v_add_co_u32_e32 v6, vcc, s6, v6
	v_addc_co_u32_e32 v7, vcc, v11, v7, vcc
	global_load_dword v11, v[6:7], off offset:544
	global_load_dword v12, v[6:7], off offset:1088
	;; [unrolled: 1-line block ×4, first 2 shown]
	s_mov_b32 s4, 0x5040100
	v_perm_b32 v9, v10, v9, s4
	ds_write_b32 v0, v9
	ds_read_b32 v9, v0 offset:544
	ds_read_b32 v10, v8 offset:6528
	global_load_dword v15, v[6:7], off offset:2720
	s_movk_i32 s4, 0x44
	v_cmp_gt_u32_e32 vcc, s4, v5
	s_waitcnt lgkmcnt(0)
	v_add_f16_e32 v16, v9, v10
	v_add_f16_sdwa v17, v10, v9 dst_sel:DWORD dst_unused:UNUSED_PAD src0_sel:WORD_1 src1_sel:WORD_1
	v_sub_f16_e32 v18, v9, v10
	v_sub_f16_sdwa v9, v9, v10 dst_sel:DWORD dst_unused:UNUSED_PAD src0_sel:WORD_1 src1_sel:WORD_1
	s_waitcnt vmcnt(4)
	v_lshrrev_b32_e32 v10, 16, v11
	v_fma_f16 v19, v18, v10, v16
	v_fma_f16 v20, v17, v10, v9
	v_fma_f16 v16, -v18, v10, v16
	v_fma_f16 v9, v17, v10, -v9
	v_fma_f16 v10, -v11, v17, v19
	v_fma_f16 v19, v18, v11, v20
	v_fma_f16 v16, v11, v17, v16
	v_fma_f16 v9, v18, v11, v9
	v_pack_b32_f16 v10, v10, v19
	v_pack_b32_f16 v9, v16, v9
	ds_write_b32 v0, v10 offset:544
	ds_write_b32 v8, v9 offset:6528
	ds_read_b32 v9, v0 offset:1088
	ds_read_b32 v10, v8 offset:5984
	s_waitcnt vmcnt(3)
	v_lshrrev_b32_e32 v11, 16, v12
	s_waitcnt lgkmcnt(0)
	v_add_f16_e32 v16, v9, v10
	v_add_f16_sdwa v17, v10, v9 dst_sel:DWORD dst_unused:UNUSED_PAD src0_sel:WORD_1 src1_sel:WORD_1
	v_sub_f16_e32 v18, v9, v10
	v_sub_f16_sdwa v9, v9, v10 dst_sel:DWORD dst_unused:UNUSED_PAD src0_sel:WORD_1 src1_sel:WORD_1
	v_fma_f16 v10, v18, v11, v16
	v_fma_f16 v19, v17, v11, v9
	v_fma_f16 v16, -v18, v11, v16
	v_fma_f16 v9, v17, v11, -v9
	v_fma_f16 v10, -v12, v17, v10
	v_fma_f16 v11, v18, v12, v19
	v_fma_f16 v16, v12, v17, v16
	v_fma_f16 v9, v18, v12, v9
	v_pack_b32_f16 v10, v10, v11
	v_pack_b32_f16 v9, v16, v9
	ds_write_b32 v0, v10 offset:1088
	ds_write_b32 v8, v9 offset:5984
	ds_read_b32 v9, v0 offset:1632
	ds_read_b32 v10, v8 offset:5440
	s_waitcnt vmcnt(2)
	v_lshrrev_b32_e32 v11, 16, v13
	s_waitcnt lgkmcnt(0)
	v_add_f16_e32 v12, v9, v10
	v_add_f16_sdwa v16, v10, v9 dst_sel:DWORD dst_unused:UNUSED_PAD src0_sel:WORD_1 src1_sel:WORD_1
	v_sub_f16_e32 v17, v9, v10
	v_sub_f16_sdwa v9, v9, v10 dst_sel:DWORD dst_unused:UNUSED_PAD src0_sel:WORD_1 src1_sel:WORD_1
	;; [unrolled: 21-line block ×4, first 2 shown]
	v_fma_f16 v10, v14, v11, v12
	v_fma_f16 v16, v13, v11, v9
	v_fma_f16 v12, -v14, v11, v12
	v_fma_f16 v9, v13, v11, -v9
	v_fma_f16 v10, -v15, v13, v10
	v_fma_f16 v11, v14, v15, v16
	v_fma_f16 v12, v15, v13, v12
	;; [unrolled: 1-line block ×3, first 2 shown]
	v_pack_b32_f16 v10, v10, v11
	v_pack_b32_f16 v9, v12, v9
	ds_write_b32 v0, v10 offset:2720
	ds_write_b32 v8, v9 offset:4352
	s_and_saveexec_b64 s[4:5], vcc
	s_cbranch_execz .LBB0_21
; %bb.20:
	global_load_dword v6, v[6:7], off offset:3264
	ds_read_b32 v7, v0 offset:3264
	ds_read_b32 v9, v8 offset:3808
	s_waitcnt lgkmcnt(0)
	v_add_f16_e32 v10, v7, v9
	v_add_f16_sdwa v11, v9, v7 dst_sel:DWORD dst_unused:UNUSED_PAD src0_sel:WORD_1 src1_sel:WORD_1
	v_sub_f16_e32 v12, v7, v9
	v_sub_f16_sdwa v7, v7, v9 dst_sel:DWORD dst_unused:UNUSED_PAD src0_sel:WORD_1 src1_sel:WORD_1
	s_waitcnt vmcnt(0)
	v_lshrrev_b32_e32 v9, 16, v6
	v_fma_f16 v13, v12, v9, v10
	v_fma_f16 v14, v11, v9, v7
	v_fma_f16 v10, -v12, v9, v10
	v_fma_f16 v7, v11, v9, -v7
	v_fma_f16 v9, -v6, v11, v13
	v_fma_f16 v13, v12, v6, v14
	v_fma_f16 v10, v6, v11, v10
	;; [unrolled: 1-line block ×3, first 2 shown]
	v_pack_b32_f16 v7, v9, v13
	v_pack_b32_f16 v6, v10, v6
	ds_write_b32 v0, v7 offset:3264
	ds_write_b32 v8, v6 offset:3808
.LBB0_21:
	s_or_b64 exec, exec, s[4:5]
	v_add_u32_e32 v6, 0x1600, v0
	s_waitcnt lgkmcnt(0)
	s_barrier
	s_barrier
	ds_read2_b32 v[12:13], v0 offset1:104
	ds_read_b32 v33, v0 offset:6656
	ds_read2_b32 v[10:11], v6 offset0:48 offset1:152
	v_add_u32_e32 v6, 0x200, v0
	ds_read2_b32 v[14:15], v6 offset0:80 offset1:184
	s_mov_b32 s19, 0xb964
	s_waitcnt lgkmcnt(2)
	v_pk_add_f16 v8, v13, v33 neg_lo:[0,1] neg_hi:[0,1]
	v_pk_add_f16 v29, v33, v13
	s_movk_i32 s6, 0x39e9
	v_mul_f16_sdwa v46, v8, s19 dst_sel:DWORD dst_unused:UNUSED_PAD src0_sel:WORD_1 src1_sel:DWORD
	s_mov_b32 s20, 0xbbf7
	s_waitcnt lgkmcnt(0)
	v_pk_add_f16 v30, v14, v11 neg_lo:[0,1] neg_hi:[0,1]
	v_fma_f16 v6, v29, s6, v46
	s_movk_i32 s8, 0x2de8
	v_pk_add_f16 v34, v11, v14
	v_mul_f16_sdwa v49, v30, s20 dst_sel:DWORD dst_unused:UNUSED_PAD src0_sel:WORD_1 src1_sel:DWORD
	v_add_f16_e32 v6, v12, v6
	v_lshrrev_b32_e32 v39, 16, v29
	s_movk_i32 s7, 0x3722
	v_mul_f16_e32 v52, 0xbb29, v8
	v_fma_f16 v7, v34, s8, v49
	v_add_f16_e32 v6, v7, v6
	v_fma_f16 v7, v39, s7, -v52
	s_mov_b32 s14, 0xb8d2
	v_lshrrev_b32_e32 v42, 16, v34
	v_mul_f16_e32 v56, 0xba62, v30
	v_add_f16_sdwa v7, v12, v7 dst_sel:DWORD dst_unused:UNUSED_PAD src0_sel:WORD_1 src1_sel:DWORD
	v_fma_f16 v9, v42, s14, -v56
	v_mul_f16_sdwa v61, v8, s20 dst_sel:DWORD dst_unused:UNUSED_PAD src0_sel:WORD_1 src1_sel:DWORD
	s_mov_b32 s9, 0xb1e1
	v_add_f16_e32 v7, v9, v7
	v_fma_f16 v9, v29, s8, v61
	s_mov_b32 s16, 0xbbdd
	v_mul_f16_sdwa v62, v30, s9 dst_sel:DWORD dst_unused:UNUSED_PAD src0_sel:WORD_1 src1_sel:DWORD
	v_add_f16_e32 v9, v12, v9
	v_fma_f16 v16, v34, s16, v62
	v_mul_f16_e32 v71, 0xbbf7, v8
	v_add_f16_e32 v9, v16, v9
	v_fma_f16 v16, v39, s8, -v71
	v_mul_f16_e32 v70, 0xb1e1, v30
	s_mov_b32 s15, 0xba62
	v_pk_add_f16 v35, v15, v10 neg_lo:[0,1] neg_hi:[0,1]
	v_add_f16_sdwa v16, v12, v16 dst_sel:DWORD dst_unused:UNUSED_PAD src0_sel:WORD_1 src1_sel:DWORD
	v_fma_f16 v17, v42, s16, -v70
	v_pk_add_f16 v36, v10, v15
	v_mul_f16_sdwa v55, v35, s15 dst_sel:DWORD dst_unused:UNUSED_PAD src0_sel:WORD_1 src1_sel:DWORD
	v_add_f16_e32 v20, v17, v16
	v_fma_f16 v16, v36, s14, v55
	v_lshrrev_b32_e32 v45, 16, v36
	v_mul_f16_e32 v60, 0x31e1, v35
	v_add_f16_e32 v6, v16, v6
	v_fma_f16 v16, v45, s16, -v60
	v_add_f16_e32 v7, v16, v7
	v_add_u32_e32 v16, 0x1200, v0
	v_add_u32_e32 v18, 0x600, v0
	ds_read2_b32 v[16:17], v16 offset0:96 offset1:200
	ds_read2_b32 v[18:19], v18 offset0:32 offset1:136
	s_movk_i32 s30, 0x3bb2
	s_mov_b32 s17, 0xb461
	v_mul_f16_sdwa v66, v35, s30 dst_sel:DWORD dst_unused:UNUSED_PAD src0_sel:WORD_1 src1_sel:DWORD
	v_fma_f16 v21, v36, s17, v66
	v_mul_f16_e32 v76, 0x3bb2, v35
	s_waitcnt lgkmcnt(0)
	v_pk_add_f16 v37, v18, v17 neg_lo:[0,1] neg_hi:[0,1]
	v_add_f16_e32 v9, v21, v9
	v_fma_f16 v21, v45, s17, -v76
	v_pk_add_f16 v40, v17, v18
	v_mul_f16_sdwa v59, v37, s9 dst_sel:DWORD dst_unused:UNUSED_PAD src0_sel:WORD_1 src1_sel:DWORD
	v_add_f16_e32 v20, v21, v20
	v_fma_f16 v21, v40, s16, v59
	v_lshrrev_b32_e32 v51, 16, v40
	v_mul_f16_e32 v65, 0x3bb2, v37
	s_movk_i32 s18, 0x35c8
	v_add_f16_e32 v6, v21, v6
	v_fma_f16 v21, v51, s17, -v65
	s_movk_i32 s21, 0x3b76
	v_mul_f16_sdwa v69, v37, s18 dst_sel:DWORD dst_unused:UNUSED_PAD src0_sel:WORD_1 src1_sel:DWORD
	v_add_f16_e32 v7, v21, v7
	v_fma_f16 v21, v40, s21, v69
	v_mul_f16_e32 v78, 0x35c8, v37
	s_movk_i32 s31, 0x3836
	v_pk_add_f16 v41, v19, v16 neg_lo:[0,1] neg_hi:[0,1]
	v_add_f16_e32 v9, v21, v9
	v_fma_f16 v21, v51, s21, -v78
	s_mov_b32 s22, 0xbacd
	v_pk_add_f16 v43, v16, v19
	v_mul_f16_sdwa v64, v41, s31 dst_sel:DWORD dst_unused:UNUSED_PAD src0_sel:WORD_1 src1_sel:DWORD
	v_add_f16_e32 v24, v21, v20
	v_fma_f16 v20, v43, s22, v64
	v_lshrrev_b32_e32 v54, 16, v43
	v_mul_f16_e32 v68, 0x3964, v41
	v_add_f16_e32 v6, v20, v6
	v_fma_f16 v20, v54, s6, -v68
	v_add_u32_e32 v32, 0x800, v0
	v_add_f16_e32 v7, v20, v7
	v_add_u32_e32 v31, 0x1000, v0
	ds_read2_b32 v[22:23], v32 offset0:112 offset1:216
	ds_read2_b32 v[20:21], v31 offset0:16 offset1:120
	s_mov_b32 s25, 0xbb29
	v_mul_f16_sdwa v73, v41, s25 dst_sel:DWORD dst_unused:UNUSED_PAD src0_sel:WORD_1 src1_sel:DWORD
	v_fma_f16 v25, v43, s7, v73
	v_mul_f16_e32 v83, 0xbb29, v41
	s_waitcnt lgkmcnt(0)
	v_pk_add_f16 v44, v22, v21 neg_lo:[0,1] neg_hi:[0,1]
	v_add_f16_e32 v9, v25, v9
	v_fma_f16 v25, v54, s7, -v83
	v_pk_add_f16 v47, v21, v22
	v_mul_f16_sdwa v67, v44, s30 dst_sel:DWORD dst_unused:UNUSED_PAD src0_sel:WORD_1 src1_sel:DWORD
	v_add_f16_e32 v24, v25, v24
	v_fma_f16 v25, v47, s17, v67
	v_lshrrev_b32_e32 v58, 16, v47
	v_mul_f16_e32 v74, 0xb5c8, v44
	s_mov_b32 s23, 0xb836
	v_add_f16_e32 v6, v25, v6
	v_fma_f16 v25, v58, s21, -v74
	v_mul_f16_sdwa v80, v44, s23 dst_sel:DWORD dst_unused:UNUSED_PAD src0_sel:WORD_1 src1_sel:DWORD
	v_add_f16_e32 v7, v25, v7
	v_fma_f16 v25, v47, s22, v80
	v_mul_f16_e32 v86, 0xb836, v44
	s_movk_i32 s24, 0x3b29
	v_pk_add_f16 v48, v23, v20 neg_lo:[0,1] neg_hi:[0,1]
	v_add_f16_e32 v9, v25, v9
	v_fma_f16 v25, v58, s22, -v86
	v_pk_add_f16 v50, v20, v23
	v_mul_f16_sdwa v72, v48, s24 dst_sel:DWORD dst_unused:UNUSED_PAD src0_sel:WORD_1 src1_sel:DWORD
	v_add_f16_e32 v24, v25, v24
	v_fma_f16 v25, v50, s7, v72
	v_lshrrev_b32_e32 v63, 16, v50
	v_mul_f16_e32 v79, 0xbbf7, v48
	s_movk_i32 s33, 0x3a62
	v_add_f16_e32 v6, v25, v6
	v_fma_f16 v25, v63, s8, -v79
	v_mul_f16_sdwa v82, v48, s33 dst_sel:DWORD dst_unused:UNUSED_PAD src0_sel:WORD_1 src1_sel:DWORD
	v_add_f16_e32 v26, v25, v7
	v_fma_f16 v7, v50, s14, v82
	v_mul_f16_e32 v93, 0x3a62, v48
	v_add_f16_e32 v9, v7, v9
	v_fma_f16 v7, v63, s14, -v93
	v_add_u32_e32 v38, 0xc00, v0
	v_add_f16_e32 v28, v7, v24
	ds_read2_b32 v[24:25], v38 offset0:64 offset1:168
	s_mov_b32 s4, 0x39e93722
	s_mov_b32 s5, 0xbb29b964
	;; [unrolled: 1-line block ×3, first 2 shown]
	v_pk_mul_f16 v77, v29, s4
	s_waitcnt lgkmcnt(0)
	v_pk_add_f16 v57, v25, v24
	v_pk_add_f16 v53, v24, v25 neg_lo:[0,1] neg_hi:[0,1]
	v_lshrrev_b32_e32 v75, 16, v57
	v_mul_f16_e32 v94, 0xb836, v53
	v_mul_f16_sdwa v81, v53, s18 dst_sel:DWORD dst_unused:UNUSED_PAD src0_sel:WORD_1 src1_sel:DWORD
	v_fma_f16 v27, v75, s22, -v94
	v_mul_f16_e32 v104, 0x3964, v53
	s_mov_b32 s27, 0xba62bbf7
	s_mov_b32 s28, 0xb8d2bbdd
	v_fma_f16 v7, v57, s21, v81
	v_pk_fma_f16 v84, v8, s5, v77 op_sel:[0,0,1] op_sel_hi:[1,1,0]
	v_pk_mul_f16 v96, v34, s26
	v_add_f16_e32 v27, v27, v26
	v_fma_f16 v26, v75, s6, -v104
	v_pk_fma_f16 v95, v8, s5, v77 op_sel:[0,0,1] op_sel_hi:[1,1,0] neg_lo:[1,0,0] neg_hi:[1,0,0]
	s_mov_b32 s29, 0x31e1ba62
	s_mov_b32 s34, 0xbbddb461
	v_add_f16_e32 v7, v7, v6
	v_pk_fma_f16 v85, v30, s27, v96 op_sel:[0,0,1] op_sel_hi:[1,1,0]
	v_add_f16_sdwa v6, v12, v84 dst_sel:DWORD dst_unused:UNUSED_PAD src0_sel:DWORD src1_sel:WORD_1
	v_pk_mul_f16 v97, v36, s28
	v_add_f16_e32 v26, v26, v28
	v_pk_fma_f16 v96, v30, s27, v96 op_sel:[0,0,1] op_sel_hi:[1,1,0] neg_lo:[1,0,0] neg_hi:[1,0,0]
	v_add_f16_sdwa v28, v12, v95 dst_sel:DWORD dst_unused:UNUSED_PAD src0_sel:WORD_1 src1_sel:DWORD
	s_mov_b32 s35, 0x3bb2b1e1
	s_mov_b32 s36, 0xbacd39e9
	v_add_f16_sdwa v6, v85, v6 dst_sel:DWORD dst_unused:UNUSED_PAD src0_sel:WORD_1 src1_sel:DWORD
	v_pk_fma_f16 v87, v35, s29, v97 op_sel:[0,0,1] op_sel_hi:[1,1,0]
	v_pk_mul_f16 v98, v40, s34
	v_pk_fma_f16 v97, v35, s29, v97 op_sel:[0,0,1] op_sel_hi:[1,1,0] neg_lo:[1,0,0] neg_hi:[1,0,0]
	v_add_f16_e32 v28, v96, v28
	s_mov_b32 s37, 0x39643836
	s_mov_b32 s38, 0xb4613b76
	v_add_f16_sdwa v6, v87, v6 dst_sel:DWORD dst_unused:UNUSED_PAD src0_sel:WORD_1 src1_sel:DWORD
	v_pk_fma_f16 v88, v37, s35, v98 op_sel:[0,0,1] op_sel_hi:[1,1,0]
	v_pk_mul_f16 v99, v43, s36
	v_pk_fma_f16 v98, v37, s35, v98 op_sel:[0,0,1] op_sel_hi:[1,1,0] neg_lo:[1,0,0] neg_hi:[1,0,0]
	v_add_f16_e32 v28, v97, v28
	;; [unrolled: 7-line block ×3, first 2 shown]
	s_mov_b32 s41, 0xbbf73b29
	s_mov_b32 s42, 0x3b76bacd
	v_add_f16_sdwa v6, v89, v6 dst_sel:DWORD dst_unused:UNUSED_PAD src0_sel:WORD_1 src1_sel:DWORD
	v_pk_fma_f16 v90, v44, s39, v100 op_sel:[0,0,1] op_sel_hi:[1,1,0]
	v_pk_mul_f16 v101, v50, s40
	s_movk_i32 s26, 0x3964
	v_pk_fma_f16 v100, v44, s39, v100 op_sel:[0,0,1] op_sel_hi:[1,1,0] neg_lo:[1,0,0] neg_hi:[1,0,0]
	v_add_f16_e32 v28, v99, v28
	s_mov_b32 s43, 0xb83635c8
	v_add_f16_sdwa v6, v90, v6 dst_sel:DWORD dst_unused:UNUSED_PAD src0_sel:WORD_1 src1_sel:DWORD
	v_pk_fma_f16 v91, v48, s41, v101 op_sel:[0,0,1] op_sel_hi:[1,1,0]
	v_pk_mul_f16 v102, v57, s42
	v_pk_fma_f16 v101, v48, s41, v101 op_sel:[0,0,1] op_sel_hi:[1,1,0] neg_lo:[1,0,0] neg_hi:[1,0,0]
	v_add_f16_e32 v28, v100, v28
	v_mul_f16_sdwa v103, v53, s26 dst_sel:DWORD dst_unused:UNUSED_PAD src0_sel:WORD_1 src1_sel:DWORD
	v_add_f16_sdwa v6, v91, v6 dst_sel:DWORD dst_unused:UNUSED_PAD src0_sel:WORD_1 src1_sel:DWORD
	v_pk_fma_f16 v92, v53, s43, v102 op_sel:[0,0,1] op_sel_hi:[1,1,0]
	v_pk_fma_f16 v102, v53, s43, v102 op_sel:[0,0,1] op_sel_hi:[1,1,0] neg_lo:[1,0,0] neg_hi:[1,0,0]
	v_add_f16_e32 v28, v101, v28
	v_fma_f16 v77, v57, s6, v103
	s_movk_i32 s4, 0x68
	v_add_f16_sdwa v6, v92, v6 dst_sel:DWORD dst_unused:UNUSED_PAD src0_sel:WORD_1 src1_sel:DWORD
	s_movk_i32 s34, 0x31e1
	s_mov_b32 s29, 0xb5c8
	v_add_f16_e32 v28, v102, v28
	v_add_f16_e32 v9, v77, v9
	v_cmp_gt_u32_e32 vcc, s4, v5
	s_barrier
	s_and_saveexec_b64 s[4:5], vcc
	s_cbranch_execz .LBB0_23
; %bb.22:
	v_mul_f16_e32 v105, 0xb461, v39
	v_fma_f16 v77, v8, s30, v105
	v_mul_f16_e32 v106, 0xbacd, v42
	v_add_f16_sdwa v77, v12, v77 dst_sel:DWORD dst_unused:UNUSED_PAD src0_sel:WORD_1 src1_sel:DWORD
	v_fma_f16 v107, v30, s23, v106
	v_add_f16_e32 v77, v107, v77
	v_mul_f16_e32 v107, 0x39e9, v45
	v_fma_f16 v108, v35, s19, v107
	v_add_f16_e32 v77, v108, v77
	v_mul_f16_e32 v108, 0x3722, v51
	;; [unrolled: 3-line block ×6, first 2 shown]
	v_fma_f16 v113, v53, s33, v112
	s_mov_b32 s27, 0xbbb2
	v_add_f16_e32 v77, v113, v77
	v_mul_f16_sdwa v113, v8, s27 dst_sel:DWORD dst_unused:UNUSED_PAD src0_sel:WORD_1 src1_sel:DWORD
	v_fma_f16 v114, v29, s17, v113
	v_mul_f16_sdwa v115, v30, s31 dst_sel:DWORD dst_unused:UNUSED_PAD src0_sel:WORD_1 src1_sel:DWORD
	v_add_f16_e32 v114, v12, v114
	v_fma_f16 v116, v34, s22, v115
	v_add_f16_e32 v114, v116, v114
	v_mul_f16_sdwa v116, v35, s26 dst_sel:DWORD dst_unused:UNUSED_PAD src0_sel:WORD_1 src1_sel:DWORD
	v_fma_f16 v105, v8, s27, v105
	v_fma_f16 v117, v36, s6, v116
	v_add_f16_sdwa v105, v12, v105 dst_sel:DWORD dst_unused:UNUSED_PAD src0_sel:WORD_1 src1_sel:DWORD
	v_fma_f16 v106, v30, s31, v106
	v_add_f16_e32 v114, v117, v114
	v_mul_f16_sdwa v117, v37, s25 dst_sel:DWORD dst_unused:UNUSED_PAD src0_sel:WORD_1 src1_sel:DWORD
	v_add_f16_e32 v105, v106, v105
	v_fma_f16 v106, v35, s26, v107
	v_fma_f16 v118, v40, s7, v117
	v_add_f16_e32 v105, v106, v105
	v_fma_f16 v106, v37, s25, v108
	v_add_f16_e32 v114, v118, v114
	v_mul_f16_sdwa v118, v41, s9 dst_sel:DWORD dst_unused:UNUSED_PAD src0_sel:WORD_1 src1_sel:DWORD
	s_movk_i32 s28, 0x3bf7
	v_add_f16_e32 v105, v106, v105
	v_fma_f16 v106, v41, s9, v109
	v_fma_f16 v119, v43, s16, v118
	v_add_f16_e32 v105, v106, v105
	v_fma_f16 v106, v44, s28, v110
	v_add_f16_e32 v114, v119, v114
	v_mul_f16_sdwa v119, v44, s28 dst_sel:DWORD dst_unused:UNUSED_PAD src0_sel:WORD_1 src1_sel:DWORD
	v_add_f16_e32 v105, v106, v105
	v_fma_f16 v106, v48, s29, v111
	v_fma_f16 v120, v47, s8, v119
	v_add_f16_e32 v105, v106, v105
	v_fma_f16 v106, v53, s15, v112
	v_add_f16_e32 v114, v120, v114
	v_mul_f16_sdwa v120, v48, s29 dst_sel:DWORD dst_unused:UNUSED_PAD src0_sel:WORD_1 src1_sel:DWORD
	v_add_f16_e32 v105, v106, v105
	v_fma_f16 v106, v29, s17, -v113
	v_fma_f16 v121, v50, s21, v120
	v_add_f16_e32 v106, v12, v106
	v_fma_f16 v107, v34, s22, -v115
	v_add_f16_e32 v114, v121, v114
	v_mul_f16_sdwa v121, v53, s15 dst_sel:DWORD dst_unused:UNUSED_PAD src0_sel:WORD_1 src1_sel:DWORD
	v_add_f16_e32 v106, v107, v106
	v_fma_f16 v107, v36, s6, -v116
	v_fma_f16 v122, v57, s14, v121
	v_add_f16_e32 v106, v107, v106
	v_fma_f16 v108, v40, s7, -v117
	v_add_f16_e32 v114, v122, v114
	v_mul_f16_e32 v122, 0xb8d2, v39
	v_add_f16_e32 v106, v108, v106
	v_fma_f16 v109, v43, s16, -v118
	v_fma_f16 v123, v8, s33, v122
	v_mul_f16_e32 v124, 0xb461, v42
	v_add_f16_e32 v106, v109, v106
	v_fma_f16 v110, v47, s8, -v119
	v_add_f16_sdwa v123, v12, v123 dst_sel:DWORD dst_unused:UNUSED_PAD src0_sel:WORD_1 src1_sel:DWORD
	v_fma_f16 v125, v30, s27, v124
	v_add_f16_e32 v106, v110, v106
	v_fma_f16 v111, v50, s21, -v120
	v_add_f16_e32 v123, v125, v123
	v_mul_f16_e32 v125, 0x3b76, v45
	v_add_f16_e32 v106, v111, v106
	v_mul_f16_e32 v111, 0x2de8, v39
	v_fma_f16 v126, v35, s18, v125
	v_add_f16_e32 v71, v71, v111
	v_mul_f16_e32 v111, 0xbbdd, v42
	v_add_f16_e32 v123, v126, v123
	v_mul_f16_e32 v126, 0xbacd, v51
	v_add_f16_e32 v70, v70, v111
	v_add_f16_sdwa v71, v12, v71 dst_sel:DWORD dst_unused:UNUSED_PAD src0_sel:WORD_1 src1_sel:DWORD
	v_fma_f16 v127, v37, s31, v126
	v_add_f16_e32 v70, v70, v71
	v_mul_f16_e32 v71, 0xb461, v45
	v_add_f16_e32 v123, v127, v123
	v_mul_f16_e32 v127, 0x2de8, v54
	v_add_f16_e32 v71, v76, v71
	v_fma_f16 v128, v41, s20, v127
	v_add_f16_e32 v70, v71, v70
	v_mul_f16_e32 v71, 0x3b76, v51
	v_add_f16_e32 v123, v128, v123
	v_mul_f16_e32 v128, 0x39e9, v58
	v_add_f16_e32 v71, v78, v71
	v_fma_f16 v129, v44, s26, v128
	v_add_f16_e32 v70, v71, v70
	v_mul_f16_e32 v71, 0x3722, v54
	v_add_f16_e32 v123, v129, v123
	v_mul_f16_e32 v129, 0xbbdd, v63
	v_add_f16_e32 v71, v83, v71
	v_fma_f16 v130, v48, s34, v129
	v_add_f16_e32 v70, v71, v70
	v_mul_f16_e32 v71, 0xbacd, v58
	v_add_f16_e32 v123, v130, v123
	v_mul_f16_e32 v130, 0x3722, v75
	v_add_f16_e32 v71, v86, v71
	v_fma_f16 v131, v53, s25, v130
	v_mul_f16_e32 v108, 0x39e9, v29
	v_fma_f16 v112, v57, s14, -v121
	v_add_f16_e32 v70, v71, v70
	v_mul_f16_e32 v71, 0xb8d2, v63
	v_add_f16_e32 v123, v131, v123
	v_mul_f16_sdwa v131, v8, s15 dst_sel:DWORD dst_unused:UNUSED_PAD src0_sel:WORD_1 src1_sel:DWORD
	v_mul_f16_e32 v110, 0x2de8, v29
	v_add_f16_e32 v106, v112, v106
	v_mul_f16_e32 v112, 0x2de8, v34
	v_add_f16_e32 v71, v93, v71
	v_sub_f16_e32 v46, v108, v46
	v_fma_f16 v132, v29, s14, v131
	v_mul_f16_sdwa v133, v30, s30 dst_sel:DWORD dst_unused:UNUSED_PAD src0_sel:WORD_1 src1_sel:DWORD
	v_mul_f16_e32 v76, 0xbbdd, v34
	v_mul_f16_e32 v78, 0xb8d2, v36
	v_add_f16_e32 v70, v71, v70
	v_mul_f16_e32 v71, 0x39e9, v75
	v_sub_f16_e32 v61, v110, v61
	v_add_f16_e32 v46, v12, v46
	v_sub_f16_e32 v49, v112, v49
	v_add_f16_e32 v132, v12, v132
	v_fma_f16 v134, v34, s17, v133
	v_mul_f16_e32 v86, 0xb461, v36
	v_mul_f16_e32 v93, 0xbbdd, v40
	v_add_f16_e32 v71, v104, v71
	v_sub_f16_e32 v62, v76, v62
	v_add_f16_e32 v61, v12, v61
	v_add_f16_e32 v46, v49, v46
	v_sub_f16_e32 v49, v78, v55
	v_add_f16_e32 v132, v134, v132
	v_mul_f16_sdwa v134, v35, s29 dst_sel:DWORD dst_unused:UNUSED_PAD src0_sel:WORD_1 src1_sel:DWORD
	v_add_f16_e32 v70, v71, v70
	v_mul_f16_e32 v71, 0x3b76, v40
	v_mul_f16_e32 v110, 0xbacd, v43
	v_add_f16_e32 v61, v62, v61
	v_sub_f16_e32 v66, v86, v66
	v_add_f16_e32 v46, v49, v46
	v_sub_f16_e32 v49, v93, v59
	v_fma_f16 v135, v36, s21, v134
	v_mul_f16_e32 v86, 0xb461, v47
	v_add_f16_e32 v61, v66, v61
	v_sub_f16_e32 v69, v71, v69
	v_add_f16_e32 v46, v49, v46
	v_sub_f16_e32 v49, v110, v64
	v_add_f16_e32 v132, v135, v132
	v_mul_f16_sdwa v135, v37, s23 dst_sel:DWORD dst_unused:UNUSED_PAD src0_sel:WORD_1 src1_sel:DWORD
	v_mul_f16_e32 v71, 0xbacd, v47
	v_add_f16_e32 v61, v69, v61
	v_mul_f16_e32 v69, 0x3722, v50
	v_add_f16_e32 v46, v49, v46
	v_sub_f16_e32 v49, v86, v67
	v_fma_f16 v136, v40, s22, v135
	v_sub_f16_e32 v71, v71, v80
	v_mul_f16_e32 v80, 0x3b76, v57
	v_add_f16_e32 v46, v49, v46
	v_sub_f16_e32 v49, v69, v72
	v_add_f16_e32 v132, v136, v132
	v_mul_f16_sdwa v136, v41, s28 dst_sel:DWORD dst_unused:UNUSED_PAD src0_sel:WORD_1 src1_sel:DWORD
	v_add_f16_e32 v46, v49, v46
	v_sub_f16_e32 v49, v80, v81
	v_fma_f16 v137, v43, s8, v136
	v_add_f16_e32 v46, v49, v46
	v_mul_f16_e32 v49, 0xb5c8, v8
	v_add_f16_e32 v132, v137, v132
	v_mul_f16_sdwa v137, v44, s19 dst_sel:DWORD dst_unused:UNUSED_PAD src0_sel:WORD_1 src1_sel:DWORD
	v_fma_f16 v55, v39, s21, v49
	v_mul_f16_e32 v59, 0xb964, v30
	v_fma_f16 v138, v47, s6, v137
	v_add_f16_sdwa v55, v12, v55 dst_sel:DWORD dst_unused:UNUSED_PAD src0_sel:WORD_1 src1_sel:DWORD
	v_fma_f16 v64, v42, s6, v59
	v_add_f16_e32 v132, v138, v132
	v_mul_f16_sdwa v138, v48, s9 dst_sel:DWORD dst_unused:UNUSED_PAD src0_sel:WORD_1 src1_sel:DWORD
	v_add_f16_e32 v55, v64, v55
	v_mul_f16_e32 v64, 0xbb29, v35
	v_fma_f16 v139, v50, s16, v138
	v_mul_f16_e32 v109, 0x3722, v39
	v_fma_f16 v67, v45, s7, v64
	v_add_f16_e32 v132, v139, v132
	v_mul_f16_sdwa v139, v53, s24 dst_sel:DWORD dst_unused:UNUSED_PAD src0_sel:WORD_1 src1_sel:DWORD
	v_mul_f16_e32 v111, 0xb8d2, v42
	v_add_f16_e32 v52, v52, v109
	v_add_f16_e32 v55, v67, v55
	v_mul_f16_e32 v67, 0xbbf7, v37
	v_fma_f16 v140, v57, s7, v139
	v_mul_f16_e32 v83, 0xbbdd, v45
	v_add_f16_sdwa v52, v12, v52 dst_sel:DWORD dst_unused:UNUSED_PAD src0_sel:WORD_1 src1_sel:DWORD
	v_add_f16_e32 v56, v56, v111
	v_fma_f16 v69, v51, s8, v67
	v_add_f16_e32 v132, v140, v132
	v_mul_f16_e32 v140, 0xbacd, v39
	v_mul_f16_e32 v104, 0xb461, v51
	v_add_f16_e32 v52, v56, v52
	v_add_f16_e32 v56, v60, v83
	;; [unrolled: 1-line block ×3, first 2 shown]
	v_mul_f16_e32 v69, 0xbbb2, v41
	v_fma_f16 v141, v8, s31, v140
	v_mul_f16_e32 v142, 0x3722, v42
	v_mul_f16_e32 v76, 0x39e9, v54
	v_add_f16_e32 v52, v56, v52
	v_add_f16_e32 v56, v65, v104
	v_fma_f16 v72, v54, s17, v69
	v_add_f16_sdwa v141, v12, v141 dst_sel:DWORD dst_unused:UNUSED_PAD src0_sel:WORD_1 src1_sel:DWORD
	v_fma_f16 v143, v30, s25, v142
	v_mul_f16_e32 v66, 0x3b76, v58
	v_add_f16_e32 v52, v56, v52
	v_add_f16_e32 v56, v68, v76
	;; [unrolled: 1-line block ×3, first 2 shown]
	v_mul_f16_e32 v72, 0xba62, v44
	v_add_f16_e32 v141, v143, v141
	v_mul_f16_e32 v143, 0x2de8, v45
	v_add_f16_e32 v52, v56, v52
	v_add_f16_e32 v56, v74, v66
	v_fma_f16 v74, v58, s14, v72
	v_fma_f16 v144, v35, s28, v143
	v_add_f16_e32 v55, v74, v55
	v_mul_f16_e32 v74, 0xb836, v48
	v_add_f16_e32 v141, v144, v141
	v_mul_f16_e32 v144, 0xb8d2, v51
	v_fma_f16 v76, v63, s22, v74
	v_fma_f16 v145, v37, s15, v144
	v_add_f16_e32 v55, v76, v55
	v_mul_f16_e32 v76, 0xb1e1, v53
	v_add_f16_e32 v141, v145, v141
	v_mul_f16_e32 v145, 0x3b76, v54
	v_mul_f16_e32 v62, 0x3722, v43
	v_fma_f16 v78, v75, s16, v76
	v_pk_add_f16 v13, v12, v13
	v_fma_f16 v146, v41, s18, v145
	v_fma_f16 v140, v8, s23, v140
	;; [unrolled: 1-line block ×3, first 2 shown]
	v_sub_f16_e32 v62, v62, v73
	v_mul_f16_e32 v73, 0x2de8, v63
	v_add_f16_e32 v55, v78, v55
	v_mul_f16_sdwa v78, v8, s29 dst_sel:DWORD dst_unused:UNUSED_PAD src0_sel:WORD_1 src1_sel:DWORD
	v_pk_add_f16 v13, v13, v14
	v_fma_f16 v14, v39, s21, -v49
	v_add_f16_e32 v141, v146, v141
	v_mul_f16_e32 v146, 0xbbdd, v58
	v_add_f16_sdwa v140, v12, v140 dst_sel:DWORD dst_unused:UNUSED_PAD src0_sel:WORD_1 src1_sel:DWORD
	v_fma_f16 v142, v30, s24, v142
	v_add_f16_sdwa v122, v12, v122 dst_sel:DWORD dst_unused:UNUSED_PAD src0_sel:WORD_1 src1_sel:DWORD
	v_fma_f16 v124, v30, s30, v124
	v_add_f16_e32 v52, v56, v52
	v_add_f16_e32 v56, v79, v73
	v_fma_f16 v79, v29, s21, -v78
	v_mul_f16_sdwa v80, v30, s19 dst_sel:DWORD dst_unused:UNUSED_PAD src0_sel:WORD_1 src1_sel:DWORD
	v_pk_add_f16 v13, v13, v15
	v_add_f16_sdwa v14, v12, v14 dst_sel:DWORD dst_unused:UNUSED_PAD src0_sel:WORD_1 src1_sel:DWORD
	v_fma_f16 v15, v42, s6, -v59
	v_fma_f16 v147, v44, s34, v146
	v_add_f16_e32 v140, v142, v140
	v_fma_f16 v142, v35, s20, v143
	v_add_f16_e32 v122, v124, v122
	v_fma_f16 v124, v35, s29, v125
	v_add_f16_e32 v61, v62, v61
	v_mul_f16_e32 v62, 0xb8d2, v50
	v_add_f16_e32 v79, v12, v79
	v_fma_f16 v81, v34, s6, -v80
	v_add_f16_e32 v14, v15, v14
	v_fma_f16 v15, v45, s7, -v64
	v_add_f16_e32 v141, v147, v141
	v_mul_f16_e32 v147, 0x39e9, v63
	v_add_f16_e32 v140, v142, v140
	v_fma_f16 v142, v37, s33, v144
	v_add_f16_e32 v122, v124, v122
	v_fma_f16 v124, v37, s23, v126
	v_add_f16_e32 v61, v71, v61
	v_sub_f16_e32 v62, v62, v82
	v_mul_f16_e32 v82, 0x39e9, v57
	v_add_f16_e32 v79, v81, v79
	v_mul_f16_sdwa v81, v35, s25 dst_sel:DWORD dst_unused:UNUSED_PAD src0_sel:WORD_1 src1_sel:DWORD
	v_add_f16_e32 v14, v15, v14
	v_fma_f16 v15, v51, s8, -v67
	v_fma_f16 v148, v48, s19, v147
	v_add_f16_e32 v140, v142, v140
	v_fma_f16 v142, v41, s29, v145
	v_add_f16_e32 v122, v124, v122
	;; [unrolled: 2-line block ×3, first 2 shown]
	v_sub_f16_e32 v62, v82, v103
	v_fma_f16 v82, v36, s7, -v81
	v_pk_add_f16 v13, v13, v18
	v_add_f16_e32 v14, v15, v14
	v_fma_f16 v15, v54, s17, -v69
	v_add_f16_e32 v141, v148, v141
	v_mul_f16_e32 v148, 0xb461, v75
	v_add_f16_e32 v140, v142, v140
	v_fma_f16 v142, v44, s9, v146
	v_add_f16_e32 v122, v124, v122
	v_fma_f16 v124, v44, s19, v128
	v_add_f16_e32 v79, v82, v79
	v_mul_f16_sdwa v82, v37, s20 dst_sel:DWORD dst_unused:UNUSED_PAD src0_sel:WORD_1 src1_sel:DWORD
	v_pk_add_f16 v13, v13, v19
	v_add_f16_e32 v14, v15, v14
	v_fma_f16 v15, v58, s14, -v72
	v_fma_f16 v149, v53, s30, v148
	v_add_f16_e32 v140, v142, v140
	v_fma_f16 v142, v48, s26, v147
	v_add_f16_e32 v122, v124, v122
	v_fma_f16 v124, v48, s9, v129
	v_mul_f16_e32 v71, 0xbacd, v75
	v_fma_f16 v83, v40, s8, -v82
	v_add_f16_e32 v14, v15, v14
	v_fma_f16 v15, v63, s22, -v74
	v_pk_add_f16 v13, v13, v22
	v_add_f16_e32 v141, v149, v141
	v_mul_f16_sdwa v149, v8, s23 dst_sel:DWORD dst_unused:UNUSED_PAD src0_sel:WORD_1 src1_sel:DWORD
	v_add_f16_e32 v140, v142, v140
	v_fma_f16 v142, v53, s27, v148
	v_add_f16_e32 v122, v124, v122
	v_fma_f16 v124, v53, s24, v130
	v_add_f16_e32 v52, v56, v52
	v_add_f16_e32 v56, v94, v71
	s_mov_b32 s30, 0xffff
	v_add_f16_e32 v79, v83, v79
	v_mul_f16_sdwa v83, v41, s27 dst_sel:DWORD dst_unused:UNUSED_PAD src0_sel:WORD_1 src1_sel:DWORD
	v_add_f16_e32 v14, v15, v14
	v_fma_f16 v15, v75, s16, -v76
	v_pk_add_f16 v13, v13, v23
	v_fma_f16 v150, v29, s22, v149
	v_add_f16_e32 v140, v142, v140
	v_fma_f16 v142, v29, s22, -v149
	v_add_f16_e32 v122, v124, v122
	v_fma_f16 v124, v29, s14, -v131
	v_add_f16_e32 v52, v56, v52
	v_bfi_b32 v56, s30, v84, v95
	v_fma_f16 v84, v43, s17, -v83
	v_add_f16_e32 v14, v15, v14
	v_fma_f16 v15, v29, s21, v78
	v_pk_add_f16 v13, v13, v24
	v_add_f16_e32 v150, v12, v150
	v_add_f16_e32 v142, v12, v142
	;; [unrolled: 1-line block ×3, first 2 shown]
	v_alignbit_b32 v107, v12, v12, 16
	v_add_f16_e32 v79, v84, v79
	v_mul_f16_sdwa v84, v44, s15 dst_sel:DWORD dst_unused:UNUSED_PAD src0_sel:WORD_1 src1_sel:DWORD
	v_add_f16_e32 v12, v12, v15
	v_fma_f16 v15, v34, s6, v80
	v_pk_add_f16 v13, v13, v25
	v_bfi_b32 v60, s30, v85, v96
	v_fma_f16 v85, v47, s14, -v84
	v_add_f16_e32 v12, v15, v12
	v_fma_f16 v15, v36, s7, v81
	v_pk_add_f16 v13, v13, v20
	v_add_f16_e32 v79, v85, v79
	v_mul_f16_sdwa v85, v48, s23 dst_sel:DWORD dst_unused:UNUSED_PAD src0_sel:WORD_1 src1_sel:DWORD
	v_add_f16_e32 v12, v15, v12
	v_fma_f16 v15, v40, s8, v82
	v_pk_add_f16 v13, v13, v21
	v_mul_f16_sdwa v151, v30, s24 dst_sel:DWORD dst_unused:UNUSED_PAD src0_sel:WORD_1 src1_sel:DWORD
	v_fma_f16 v86, v50, s22, -v85
	v_add_f16_e32 v12, v15, v12
	v_fma_f16 v15, v43, s17, v83
	v_pk_add_f16 v13, v13, v16
	v_fma_f16 v152, v34, s7, v151
	v_add_f16_e32 v79, v86, v79
	v_mul_f16_sdwa v86, v53, s9 dst_sel:DWORD dst_unused:UNUSED_PAD src0_sel:WORD_1 src1_sel:DWORD
	v_add_f16_e32 v12, v15, v12
	v_fma_f16 v15, v47, s14, v84
	v_pk_add_f16 v13, v13, v17
	v_add_f16_e32 v150, v152, v150
	v_mul_f16_sdwa v152, v35, s20 dst_sel:DWORD dst_unused:UNUSED_PAD src0_sel:WORD_1 src1_sel:DWORD
	v_add_f16_e32 v61, v62, v61
	v_bfi_b32 v62, s30, v87, v97
	v_fma_f16 v87, v57, s16, -v86
	v_add_f16_e32 v12, v15, v12
	v_fma_f16 v15, v50, s22, v85
	v_pk_add_f16 v10, v13, v10
	v_fma_f16 v153, v36, s8, v152
	v_add_f16_e32 v79, v87, v79
	v_add_f16_e32 v12, v15, v12
	v_fma_f16 v15, v57, s16, v86
	v_pk_add_f16 v10, v10, v11
	v_add_f16_e32 v150, v153, v150
	v_mul_f16_sdwa v153, v37, s33 dst_sel:DWORD dst_unused:UNUSED_PAD src0_sel:WORD_1 src1_sel:DWORD
	v_add_f16_e32 v12, v15, v12
	v_lshl_add_u32 v15, v5, 6, v0
	v_pk_add_f16 v10, v10, v33
	v_pack_b32_f16 v11, v79, v55
	v_fma_f16 v154, v40, s14, v153
	ds_write2_b32 v15, v10, v11 offset1:1
	v_pk_add_f16 v10, v107, v56
	v_add_f16_e32 v150, v154, v150
	v_mul_f16_sdwa v154, v41, s29 dst_sel:DWORD dst_unused:UNUSED_PAD src0_sel:WORD_1 src1_sel:DWORD
	v_pk_add_f16 v10, v60, v10
	v_fma_f16 v155, v43, s21, v154
	v_fma_f16 v143, v34, s7, -v151
	v_fma_f16 v125, v34, s17, -v133
	v_bfi_b32 v65, s30, v88, v98
	v_pk_add_f16 v10, v62, v10
	v_add_f16_e32 v150, v155, v150
	v_mul_f16_sdwa v155, v44, s9 dst_sel:DWORD dst_unused:UNUSED_PAD src0_sel:WORD_1 src1_sel:DWORD
	v_add_f16_e32 v142, v143, v142
	v_fma_f16 v143, v36, s8, -v152
	v_add_f16_e32 v124, v125, v124
	v_fma_f16 v125, v36, s21, -v134
	v_bfi_b32 v66, s30, v89, v99
	v_pk_add_f16 v10, v65, v10
	v_fma_f16 v156, v47, s16, v155
	v_add_f16_e32 v142, v143, v142
	v_fma_f16 v143, v40, s14, -v153
	v_add_f16_e32 v124, v125, v124
	v_fma_f16 v125, v40, s22, -v135
	v_bfi_b32 v68, s30, v90, v100
	v_pk_add_f16 v10, v66, v10
	v_add_f16_e32 v150, v156, v150
	v_mul_f16_sdwa v156, v48, s26 dst_sel:DWORD dst_unused:UNUSED_PAD src0_sel:WORD_1 src1_sel:DWORD
	v_add_f16_e32 v142, v143, v142
	v_fma_f16 v143, v43, s21, -v154
	v_add_f16_e32 v124, v125, v124
	v_fma_f16 v125, v43, s8, -v136
	v_bfi_b32 v71, s30, v91, v101
	v_pk_add_f16 v10, v68, v10
	v_fma_f16 v157, v50, s6, v156
	v_add_f16_e32 v142, v143, v142
	v_fma_f16 v143, v47, s16, -v155
	v_add_f16_e32 v124, v125, v124
	v_fma_f16 v125, v47, s6, -v137
	v_bfi_b32 v73, s30, v92, v102
	v_pk_add_f16 v10, v71, v10
	v_add_f16_e32 v150, v157, v150
	v_mul_f16_sdwa v157, v53, s27 dst_sel:DWORD dst_unused:UNUSED_PAD src0_sel:WORD_1 src1_sel:DWORD
	v_add_f16_e32 v142, v143, v142
	v_fma_f16 v143, v50, s6, -v156
	v_add_f16_e32 v124, v125, v124
	v_fma_f16 v125, v50, s16, -v138
	v_pk_add_f16 v10, v73, v10
	v_add_f16_e32 v142, v143, v142
	v_fma_f16 v143, v57, s17, -v157
	v_add_f16_e32 v124, v125, v124
	v_fma_f16 v125, v57, s7, -v139
	v_alignbit_b32 v11, v52, v10, 16
	v_pack_b32_f16 v10, v46, v10
	v_add_f16_e32 v142, v143, v142
	v_add_f16_e32 v124, v125, v124
	ds_write2_b32 v15, v10, v11 offset0:2 offset1:3
	v_pack_b32_f16 v10, v61, v70
	v_pack_b32_f16 v11, v106, v105
	ds_write2_b32 v15, v10, v11 offset0:4 offset1:5
	v_pack_b32_f16 v10, v142, v140
	v_pack_b32_f16 v11, v124, v122
	ds_write2_b32 v15, v11, v10 offset0:6 offset1:7
	v_pk_mul_f16 v10, v29, s16 op_sel_hi:[1,0]
	v_pk_fma_f16 v11, v8, s9, v10 op_sel:[0,0,1] op_sel_hi:[1,0,0] neg_lo:[1,0,0] neg_hi:[1,0,0]
	v_pk_mul_f16 v13, v34, s21 op_sel_hi:[1,0]
	v_pk_add_f16 v11, v107, v11
	v_pk_fma_f16 v16, v30, s18, v13 op_sel:[0,0,1] op_sel_hi:[1,0,0] neg_lo:[1,0,0] neg_hi:[1,0,0]
	v_pk_add_f16 v11, v16, v11
	v_pk_mul_f16 v16, v36, s22 op_sel_hi:[1,0]
	v_pk_fma_f16 v17, v35, s23, v16 op_sel:[0,0,1] op_sel_hi:[1,0,0] neg_lo:[1,0,0] neg_hi:[1,0,0]
	v_pk_add_f16 v11, v17, v11
	v_pk_mul_f16 v17, v40, s6 op_sel_hi:[1,0]
	;; [unrolled: 3-line block ×3, first 2 shown]
	v_pk_fma_f16 v8, v8, s9, v10 op_sel:[0,0,1] op_sel_hi:[1,0,0]
	v_pk_fma_f16 v19, v41, s15, v18 op_sel:[0,0,1] op_sel_hi:[1,0,0] neg_lo:[1,0,0] neg_hi:[1,0,0]
	v_pk_add_f16 v8, v107, v8
	v_pk_fma_f16 v10, v30, s18, v13 op_sel:[0,0,1] op_sel_hi:[1,0,0]
	v_pk_add_f16 v11, v19, v11
	v_pk_mul_f16 v19, v47, s7 op_sel_hi:[1,0]
	v_pk_add_f16 v8, v10, v8
	v_pk_fma_f16 v10, v35, s23, v16 op_sel:[0,0,1] op_sel_hi:[1,0,0]
	v_pk_fma_f16 v20, v44, s24, v19 op_sel:[0,0,1] op_sel_hi:[1,0,0] neg_lo:[1,0,0] neg_hi:[1,0,0]
	v_pk_add_f16 v8, v10, v8
	v_pk_fma_f16 v10, v37, s26, v17 op_sel:[0,0,1] op_sel_hi:[1,0,0]
	v_pk_add_f16 v11, v20, v11
	v_pk_mul_f16 v20, v50, s17 op_sel_hi:[1,0]
	v_pk_add_f16 v8, v10, v8
	;; [unrolled: 7-line block ×3, first 2 shown]
	v_pk_fma_f16 v10, v48, s27, v20 op_sel:[0,0,1] op_sel_hi:[1,0,0]
	v_pk_fma_f16 v22, v53, s28, v21 op_sel:[0,0,1] op_sel_hi:[1,0,0] neg_lo:[1,0,0] neg_hi:[1,0,0]
	v_pk_add_f16 v8, v10, v8
	v_pk_fma_f16 v10, v53, s28, v21 op_sel:[0,0,1] op_sel_hi:[1,0,0]
	v_fma_f16 v158, v57, s17, v157
	v_pk_add_f16 v11, v22, v11
	v_pk_add_f16 v8, v10, v8
	v_add_f16_e32 v150, v158, v150
	v_alignbit_b32 v10, v11, v8, 16
	v_alignbit_b32 v8, v8, v11, 16
	ds_write2_b32 v15, v8, v10 offset0:8 offset1:9
	v_pack_b32_f16 v8, v132, v123
	v_pack_b32_f16 v10, v150, v141
	s_mov_b32 s6, 0x5040100
	ds_write2_b32 v15, v10, v8 offset0:10 offset1:11
	v_pack_b32_f16 v8, v114, v77
	v_perm_b32 v10, v26, v9, s6
	ds_write2_b32 v15, v8, v10 offset0:12 offset1:13
	v_perm_b32 v8, v28, v7, s6
	v_perm_b32 v10, v27, v6, s6
	ds_write2_b32 v15, v10, v8 offset0:14 offset1:15
	v_pack_b32_f16 v8, v12, v14
	ds_write_b32 v15, v8 offset:64
.LBB0_23:
	s_or_b64 exec, exec, s[4:5]
	s_movk_i32 s4, 0xf1
	v_mul_lo_u16_sdwa v8, v5, s4 dst_sel:DWORD dst_unused:UNUSED_PAD src0_sel:BYTE_0 src1_sel:DWORD
	v_lshrrev_b16_e32 v14, 12, v8
	v_mul_lo_u16_e32 v8, 17, v14
	v_sub_u16_e32 v15, v5, v8
	v_mov_b32_e32 v8, 12
	v_mul_u32_u24_sdwa v8, v15, v8 dst_sel:DWORD dst_unused:UNUSED_PAD src0_sel:BYTE_0 src1_sel:DWORD
	v_lshlrev_b32_e32 v8, 2, v8
	s_waitcnt lgkmcnt(0)
	s_barrier
	global_load_dwordx4 v[10:13], v8, s[12:13]
	global_load_dwordx4 v[16:19], v8, s[12:13] offset:16
	global_load_dwordx4 v[20:23], v8, s[12:13] offset:32
	ds_read2_b32 v[24:25], v0 offset1:136
	v_add_u32_e32 v8, 0x400, v0
	ds_read2_b32 v[29:30], v32 offset0:32 offset1:168
	ds_read2_b32 v[32:33], v38 offset0:48 offset1:184
	;; [unrolled: 1-line block ×3, first 2 shown]
	v_add_u32_e32 v31, 0x1400, v0
	ds_read_b32 v40, v0 offset:6528
	ds_read2_b32 v[36:37], v8 offset0:16 offset1:152
	ds_read2_b32 v[38:39], v31 offset0:80 offset1:216
	s_waitcnt lgkmcnt(6)
	v_lshrrev_b32_e32 v45, 16, v25
	s_waitcnt lgkmcnt(5)
	v_lshrrev_b32_e32 v8, 16, v30
	;; [unrolled: 2-line block ×6, first 2 shown]
	v_lshrrev_b32_e32 v49, 16, v36
	v_lshrrev_b32_e32 v41, 16, v33
	;; [unrolled: 1-line block ×6, first 2 shown]
	s_movk_i32 s6, 0x3b15
	s_movk_i32 s5, 0x388b
	;; [unrolled: 1-line block ×3, first 2 shown]
	s_mov_b32 s7, 0xb5ac
	s_mov_b32 s8, 0xb9fd
	;; [unrolled: 1-line block ×3, first 2 shown]
	v_mul_u32_u24_e32 v14, 0x374, v14
	s_waitcnt vmcnt(0)
	s_barrier
	v_mul_f16_sdwa v51, v10, v45 dst_sel:DWORD dst_unused:UNUSED_PAD src0_sel:WORD_1 src1_sel:DWORD
	v_mul_f16_sdwa v52, v10, v25 dst_sel:DWORD dst_unused:UNUSED_PAD src0_sel:WORD_1 src1_sel:DWORD
	;; [unrolled: 1-line block ×4, first 2 shown]
	v_mul_f16_sdwa v59, v8, v16 dst_sel:DWORD dst_unused:UNUSED_PAD src0_sel:DWORD src1_sel:WORD_1
	v_mul_f16_sdwa v60, v30, v16 dst_sel:DWORD dst_unused:UNUSED_PAD src0_sel:DWORD src1_sel:WORD_1
	;; [unrolled: 1-line block ×6, first 2 shown]
	v_fma_f16 v25, v10, v25, -v51
	v_fma_f16 v10, v10, v45, v52
	v_mul_f16_sdwa v55, v12, v50 dst_sel:DWORD dst_unused:UNUSED_PAD src0_sel:WORD_1 src1_sel:DWORD
	v_mul_f16_sdwa v56, v12, v37 dst_sel:DWORD dst_unused:UNUSED_PAD src0_sel:WORD_1 src1_sel:DWORD
	v_mul_f16_sdwa v62, v32, v17 dst_sel:DWORD dst_unused:UNUSED_PAD src0_sel:DWORD src1_sel:WORD_1
	v_mul_f16_sdwa v63, v41, v18 dst_sel:DWORD dst_unused:UNUSED_PAD src0_sel:DWORD src1_sel:WORD_1
	;; [unrolled: 1-line block ×7, first 2 shown]
	v_fma_f16 v36, v11, v36, -v53
	v_fma_f16 v11, v11, v49, v54
	v_fma_f16 v30, v30, v16, -v59
	v_fma_f16 v8, v8, v16, v60
	v_fma_f16 v16, v32, v17, -v61
	v_fma_f16 v32, v34, v19, -v65
	v_fma_f16 v34, v38, v21, -v69
	v_fma_f16 v38, v40, v23, -v73
	v_add_f16_sdwa v40, v10, v24 dst_sel:DWORD dst_unused:UNUSED_PAD src0_sel:DWORD src1_sel:WORD_1
	v_mul_f16_sdwa v57, v13, v46 dst_sel:DWORD dst_unused:UNUSED_PAD src0_sel:WORD_1 src1_sel:DWORD
	v_mul_f16_sdwa v58, v13, v29 dst_sel:DWORD dst_unused:UNUSED_PAD src0_sel:WORD_1 src1_sel:DWORD
	v_mul_f16_sdwa v64, v33, v18 dst_sel:DWORD dst_unused:UNUSED_PAD src0_sel:DWORD src1_sel:WORD_1
	v_mul_f16_sdwa v68, v35, v20 dst_sel:DWORD dst_unused:UNUSED_PAD src0_sel:DWORD src1_sel:WORD_1
	;; [unrolled: 1-line block ×3, first 2 shown]
	v_fma_f16 v37, v12, v37, -v55
	v_fma_f16 v12, v12, v50, v56
	v_fma_f16 v17, v31, v17, v62
	v_fma_f16 v31, v33, v18, -v63
	v_fma_f16 v33, v35, v20, -v67
	;; [unrolled: 1-line block ×3, first 2 shown]
	v_add_f16_e32 v39, v25, v24
	v_add_f16_e32 v40, v40, v11
	v_fma_f16 v29, v13, v29, -v57
	v_fma_f16 v13, v13, v46, v58
	v_add_f16_e32 v39, v39, v36
	v_add_f16_e32 v40, v40, v12
	;; [unrolled: 1-line block ×6, first 2 shown]
	v_fma_f16 v18, v41, v18, v64
	v_add_f16_e32 v39, v39, v30
	v_add_f16_e32 v40, v40, v17
	v_fma_f16 v19, v42, v19, v66
	v_add_f16_e32 v39, v39, v16
	v_add_f16_e32 v40, v40, v18
	;; [unrolled: 3-line block ×4, first 2 shown]
	v_fma_f16 v22, v48, v22, v72
	v_fma_f16 v23, v44, v23, v74
	v_add_f16_e32 v39, v39, v33
	v_add_f16_e32 v40, v40, v21
	;; [unrolled: 1-line block ×6, first 2 shown]
	v_sub_f16_e32 v25, v25, v38
	v_sub_f16_e32 v10, v10, v23
	v_add_f16_e32 v39, v39, v35
	v_add_f16_e32 v40, v40, v23
	v_mul_f16_e32 v23, 0xb770, v10
	v_mul_f16_e32 v43, 0xb770, v25
	;; [unrolled: 1-line block ×12, first 2 shown]
	v_add_f16_e32 v39, v39, v38
	v_fma_f16 v38, v41, s6, -v23
	v_fma_f16 v44, v42, s6, v43
	v_fma_f16 v23, v41, s6, v23
	v_fma_f16 v43, v42, s6, -v43
	v_fma_f16 v46, v41, s5, -v45
	v_fma_f16 v48, v42, s5, v47
	v_fma_f16 v45, v41, s5, v45
	v_fma_f16 v47, v42, s5, -v47
	;; [unrolled: 4-line block ×6, first 2 shown]
	v_add_f16_e32 v41, v11, v22
	v_sub_f16_e32 v11, v11, v22
	v_add_f16_e32 v38, v38, v24
	v_add_f16_sdwa v44, v44, v24 dst_sel:DWORD dst_unused:UNUSED_PAD src0_sel:DWORD src1_sel:WORD_1
	v_add_f16_e32 v23, v23, v24
	v_add_f16_sdwa v43, v43, v24 dst_sel:DWORD dst_unused:UNUSED_PAD src0_sel:DWORD src1_sel:WORD_1
	;; [unrolled: 2-line block ×12, first 2 shown]
	v_add_f16_e32 v25, v36, v35
	v_mul_f16_e32 v22, 0xba95, v11
	v_sub_f16_e32 v35, v36, v35
	v_fma_f16 v36, v25, s5, -v22
	v_add_f16_e32 v36, v36, v38
	v_mul_f16_e32 v38, 0xba95, v35
	v_fma_f16 v22, v25, s5, v22
	v_fma_f16 v42, v41, s5, v38
	v_add_f16_e32 v22, v22, v23
	v_fma_f16 v23, v41, s5, -v38
	v_mul_f16_e32 v38, 0xbb7b, v11
	v_add_f16_e32 v42, v42, v44
	v_add_f16_e32 v23, v23, v43
	v_fma_f16 v43, v25, s7, -v38
	v_mul_f16_e32 v44, 0xbb7b, v35
	v_fma_f16 v38, v25, s7, v38
	v_add_f16_e32 v43, v43, v46
	v_fma_f16 v46, v41, s7, v44
	v_add_f16_e32 v38, v38, v45
	v_fma_f16 v44, v41, s7, -v44
	v_mul_f16_e32 v45, 0xb3a8, v11
	v_add_f16_e32 v46, v46, v48
	v_add_f16_e32 v44, v44, v47
	v_fma_f16 v47, v25, s9, -v45
	v_mul_f16_e32 v48, 0xb3a8, v35
	v_fma_f16 v45, v25, s9, v45
	v_add_f16_e32 v47, v47, v50
	;; [unrolled: 10-line block ×3, first 2 shown]
	v_fma_f16 v54, v41, s8, v52
	v_add_f16_e32 v49, v49, v53
	v_fma_f16 v52, v41, s8, -v52
	v_mul_f16_e32 v53, 0x3bf1, v11
	v_add_f16_e32 v52, v52, v55
	v_fma_f16 v55, v25, s4, -v53
	v_fma_f16 v53, v25, s4, v53
	v_mul_f16_e32 v11, 0x3770, v11
	v_add_f16_e32 v54, v54, v56
	v_mul_f16_e32 v56, 0x3bf1, v35
	v_add_f16_e32 v53, v53, v57
	v_fma_f16 v57, v25, s6, -v11
	v_mul_f16_e32 v35, 0x3770, v35
	v_fma_f16 v11, v25, s6, v11
	v_add_f16_e32 v10, v11, v10
	v_fma_f16 v11, v41, s6, -v35
	v_add_f16_e32 v25, v12, v21
	v_sub_f16_e32 v12, v12, v21
	v_add_f16_e32 v55, v55, v58
	v_fma_f16 v58, v41, s4, v56
	v_fma_f16 v56, v41, s4, -v56
	v_add_f16_e32 v11, v11, v24
	v_add_f16_e32 v24, v37, v34
	v_mul_f16_e32 v21, 0xbbf1, v12
	v_add_f16_e32 v56, v56, v59
	v_fma_f16 v59, v41, s6, v35
	v_sub_f16_e32 v34, v37, v34
	v_fma_f16 v35, v24, s4, -v21
	v_add_f16_e32 v35, v35, v36
	v_mul_f16_e32 v36, 0xbbf1, v34
	v_fma_f16 v21, v24, s4, v21
	v_add_f16_e32 v21, v21, v22
	v_fma_f16 v22, v25, s4, -v36
	v_add_f16_e32 v22, v22, v23
	v_mul_f16_e32 v23, 0xb3a8, v12
	v_fma_f16 v37, v25, s4, v36
	v_fma_f16 v36, v24, s9, -v23
	v_mul_f16_e32 v41, 0xb3a8, v34
	v_fma_f16 v23, v24, s9, v23
	v_add_f16_e32 v37, v37, v42
	v_fma_f16 v42, v25, s9, v41
	v_add_f16_e32 v23, v23, v38
	v_fma_f16 v38, v25, s9, -v41
	v_mul_f16_e32 v41, 0x3b7b, v12
	v_add_f16_e32 v36, v36, v43
	v_fma_f16 v43, v24, s7, -v41
	v_fma_f16 v41, v24, s7, v41
	v_add_f16_e32 v38, v38, v44
	v_mul_f16_e32 v44, 0x3b7b, v34
	v_add_f16_e32 v41, v41, v45
	v_mul_f16_e32 v45, 0x3770, v12
	v_add_f16_e32 v42, v42, v46
	v_add_f16_e32 v43, v43, v47
	v_fma_f16 v46, v25, s7, v44
	v_fma_f16 v44, v25, s7, -v44
	v_fma_f16 v47, v24, s6, -v45
	v_fma_f16 v45, v24, s6, v45
	v_add_f16_e32 v44, v44, v48
	v_mul_f16_e32 v48, 0x3770, v34
	v_add_f16_e32 v45, v45, v49
	v_mul_f16_e32 v49, 0xba95, v12
	v_add_f16_e32 v46, v46, v50
	v_add_f16_e32 v47, v47, v51
	v_fma_f16 v50, v25, s6, v48
	v_fma_f16 v48, v25, s6, -v48
	v_fma_f16 v51, v24, s5, -v49
	v_fma_f16 v49, v24, s5, v49
	v_mul_f16_e32 v12, 0xb94e, v12
	v_add_f16_e32 v48, v48, v52
	v_mul_f16_e32 v52, 0xba95, v34
	v_add_f16_e32 v49, v49, v53
	v_fma_f16 v53, v24, s8, -v12
	v_mul_f16_e32 v34, 0xb94e, v34
	v_fma_f16 v12, v24, s8, v12
	v_add_f16_e32 v10, v12, v10
	v_fma_f16 v12, v25, s8, -v34
	v_add_f16_e32 v24, v13, v20
	v_sub_f16_e32 v13, v13, v20
	v_add_f16_e32 v50, v50, v54
	v_add_f16_e32 v51, v51, v55
	v_fma_f16 v54, v25, s5, v52
	v_fma_f16 v52, v25, s5, -v52
	v_fma_f16 v55, v25, s8, v34
	v_add_f16_e32 v11, v12, v11
	v_add_f16_e32 v12, v29, v33
	v_sub_f16_e32 v25, v29, v33
	v_mul_f16_e32 v20, 0xbb7b, v13
	v_fma_f16 v29, v12, s7, -v20
	v_mul_f16_e32 v33, 0xbb7b, v25
	v_fma_f16 v20, v12, s7, v20
	v_add_f16_e32 v20, v20, v21
	v_fma_f16 v21, v24, s7, -v33
	v_add_f16_e32 v21, v21, v22
	v_mul_f16_e32 v22, 0x394e, v13
	v_add_f16_e32 v29, v29, v35
	v_fma_f16 v34, v24, s7, v33
	v_fma_f16 v33, v12, s8, -v22
	v_mul_f16_e32 v35, 0x394e, v25
	v_fma_f16 v22, v12, s8, v22
	v_add_f16_e32 v33, v33, v36
	v_fma_f16 v36, v24, s8, v35
	v_add_f16_e32 v22, v22, v23
	v_fma_f16 v23, v24, s8, -v35
	v_mul_f16_e32 v35, 0x3770, v13
	v_add_f16_e32 v34, v34, v37
	v_fma_f16 v37, v12, s6, -v35
	v_fma_f16 v35, v12, s6, v35
	v_add_f16_e32 v23, v23, v38
	v_mul_f16_e32 v38, 0x3770, v25
	v_add_f16_e32 v35, v35, v41
	v_mul_f16_e32 v41, 0xbbf1, v13
	v_add_f16_e32 v36, v36, v42
	v_add_f16_e32 v37, v37, v43
	v_fma_f16 v42, v24, s6, v38
	v_fma_f16 v38, v24, s6, -v38
	v_fma_f16 v43, v12, s4, -v41
	v_fma_f16 v41, v12, s4, v41
	v_add_f16_e32 v38, v38, v44
	v_mul_f16_e32 v44, 0xbbf1, v25
	v_add_f16_e32 v41, v41, v45
	v_mul_f16_e32 v45, 0x33a8, v13
	v_add_f16_e32 v42, v42, v46
	v_add_f16_e32 v43, v43, v47
	v_fma_f16 v46, v24, s4, v44
	v_fma_f16 v44, v24, s4, -v44
	v_fma_f16 v47, v12, s9, -v45
	v_fma_f16 v45, v12, s9, v45
	v_mul_f16_e32 v13, 0x3a95, v13
	v_add_f16_e32 v44, v44, v48
	v_mul_f16_e32 v48, 0x33a8, v25
	v_add_f16_e32 v45, v45, v49
	v_fma_f16 v49, v12, s5, -v13
	v_mul_f16_e32 v25, 0x3a95, v25
	v_fma_f16 v12, v12, s5, v13
	v_add_f16_e32 v10, v12, v10
	v_fma_f16 v12, v24, s5, -v25
	v_add_f16_e32 v13, v8, v19
	v_sub_f16_e32 v8, v8, v19
	v_add_f16_e32 v11, v12, v11
	v_add_f16_e32 v12, v30, v32
	v_mul_f16_e32 v19, 0xb94e, v8
	v_add_f16_e32 v46, v46, v50
	v_add_f16_e32 v47, v47, v51
	v_fma_f16 v50, v24, s9, v48
	v_fma_f16 v48, v24, s9, -v48
	v_fma_f16 v51, v24, s5, v25
	v_sub_f16_e32 v24, v30, v32
	v_fma_f16 v25, v12, s8, -v19
	v_add_f16_e32 v25, v25, v29
	v_mul_f16_e32 v29, 0xb94e, v24
	v_fma_f16 v19, v12, s8, v19
	v_add_f16_e32 v19, v19, v20
	v_fma_f16 v20, v13, s8, -v29
	v_add_f16_e32 v20, v20, v21
	v_mul_f16_e32 v21, 0x3bf1, v8
	v_fma_f16 v30, v13, s8, v29
	v_fma_f16 v29, v12, s4, -v21
	v_mul_f16_e32 v32, 0x3bf1, v24
	v_fma_f16 v21, v12, s4, v21
	v_add_f16_e32 v21, v21, v22
	v_fma_f16 v22, v13, s4, -v32
	v_add_f16_e32 v23, v22, v23
	v_mul_f16_e32 v22, 0xba95, v8
	v_add_f16_e32 v30, v30, v34
	v_add_f16_e32 v29, v29, v33
	v_fma_f16 v33, v13, s4, v32
	v_fma_f16 v32, v12, s5, -v22
	v_mul_f16_e32 v34, 0xba95, v24
	v_fma_f16 v22, v12, s5, v22
	v_add_f16_e32 v35, v22, v35
	v_fma_f16 v22, v13, s5, -v34
	v_add_f16_e32 v33, v33, v36
	v_fma_f16 v36, v13, s5, v34
	v_add_f16_e32 v34, v22, v38
	v_mul_f16_e32 v22, 0x33a8, v8
	v_add_f16_e32 v32, v32, v37
	v_fma_f16 v37, v12, s9, -v22
	v_mul_f16_e32 v38, 0x33a8, v24
	v_fma_f16 v22, v12, s9, v22
	v_add_f16_e32 v41, v22, v41
	v_fma_f16 v22, v13, s9, -v38
	v_add_f16_e32 v36, v36, v42
	v_fma_f16 v42, v13, s9, v38
	v_add_f16_e32 v38, v22, v44
	v_mul_f16_e32 v22, 0x3770, v8
	v_add_f16_e32 v57, v57, v61
	v_add_f16_e32 v52, v52, v56
	;; [unrolled: 1-line block ×3, first 2 shown]
	v_fma_f16 v43, v12, s6, -v22
	v_mul_f16_e32 v44, 0x3770, v24
	v_fma_f16 v22, v12, s6, v22
	v_add_f16_e32 v53, v53, v57
	v_add_f16_e32 v48, v48, v52
	;; [unrolled: 1-line block ×3, first 2 shown]
	v_fma_f16 v22, v13, s6, -v44
	v_mul_f16_e32 v8, 0xbb7b, v8
	v_add_f16_e32 v58, v58, v60
	v_add_f16_e32 v59, v59, v62
	;; [unrolled: 1-line block ×4, first 2 shown]
	v_fma_f16 v46, v13, s6, v44
	v_add_f16_e32 v44, v22, v48
	v_fma_f16 v22, v12, s7, -v8
	v_add_f16_e32 v54, v54, v58
	v_add_f16_e32 v55, v55, v59
	;; [unrolled: 1-line block ×4, first 2 shown]
	v_mul_f16_e32 v22, 0xbb7b, v24
	v_fma_f16 v8, v12, s7, v8
	v_add_f16_e32 v50, v50, v54
	v_add_f16_e32 v51, v51, v55
	v_fma_f16 v24, v13, s7, v22
	v_add_f16_e32 v49, v8, v10
	v_fma_f16 v8, v13, s7, -v22
	v_add_f16_e32 v52, v17, v18
	v_sub_f16_e32 v17, v17, v18
	v_add_f16_e32 v46, v46, v50
	v_add_f16_e32 v48, v24, v51
	;; [unrolled: 1-line block ×4, first 2 shown]
	v_mul_f16_e32 v8, 0xb3a8, v17
	v_sub_f16_e32 v16, v16, v31
	v_fma_f16 v10, v51, s9, -v8
	v_add_f16_e32 v18, v10, v25
	v_mul_f16_e32 v10, 0xb3a8, v16
	v_fma_f16 v11, v52, s9, v10
	v_fma_f16 v10, v52, s9, -v10
	v_add_f16_e32 v22, v10, v20
	v_mul_f16_e32 v10, 0x3770, v17
	v_add_f16_e32 v30, v11, v30
	v_fma_f16 v8, v51, s9, v8
	v_fma_f16 v11, v51, s6, -v10
	v_add_f16_e32 v8, v8, v19
	v_add_f16_e32 v19, v11, v29
	v_mul_f16_e32 v11, 0x3770, v16
	v_fma_f16 v10, v51, s6, v10
	v_add_f16_e32 v13, v10, v21
	v_fma_f16 v10, v52, s6, -v11
	v_add_f16_e32 v24, v10, v23
	v_mul_f16_e32 v10, 0xb94e, v17
	v_fma_f16 v12, v52, s6, v11
	v_fma_f16 v11, v51, s8, -v10
	v_add_f16_e32 v21, v11, v32
	v_mul_f16_e32 v11, 0xb94e, v16
	v_add_f16_e32 v20, v12, v33
	v_fma_f16 v12, v52, s8, v11
	v_fma_f16 v10, v51, s8, v10
	v_add_f16_e32 v31, v12, v36
	v_add_f16_e32 v12, v10, v35
	v_fma_f16 v10, v52, s8, -v11
	v_add_f16_e32 v25, v10, v34
	v_mul_f16_e32 v10, 0x3a95, v17
	v_fma_f16 v11, v51, s5, -v10
	v_mul_f16_e32 v23, 0x3a95, v16
	v_add_f16_e32 v32, v11, v37
	v_fma_f16 v11, v52, s5, v23
	v_fma_f16 v10, v51, s5, v10
	v_add_f16_e32 v33, v11, v42
	v_add_f16_e32 v11, v10, v41
	v_fma_f16 v10, v52, s5, -v23
	v_add_f16_e32 v29, v10, v38
	v_mul_f16_e32 v10, 0xbb7b, v17
	v_fma_f16 v23, v51, s7, -v10
	v_mov_b32_e32 v38, 2
	v_add_f16_e32 v34, v23, v43
	v_mul_f16_e32 v23, 0xbb7b, v16
	v_lshlrev_b32_sdwa v15, v38, v15 dst_sel:DWORD dst_unused:UNUSED_PAD src0_sel:DWORD src1_sel:BYTE_0
	v_fma_f16 v35, v52, s7, v23
	v_mul_f16_e32 v17, 0x3bf1, v17
	v_mul_f16_e32 v16, 0x3bf1, v16
	v_add3_u32 v14, 0, v14, v15
	v_pack_b32_f16 v15, v39, v40
	v_pack_b32_f16 v18, v18, v30
	v_add_f16_e32 v35, v35, v46
	v_fma_f16 v36, v51, s4, -v17
	v_fma_f16 v37, v52, s4, v16
	v_fma_f16 v17, v51, s4, v17
	v_fma_f16 v16, v52, s4, -v16
	ds_write2_b32 v14, v15, v18 offset1:17
	v_pack_b32_f16 v15, v19, v20
	v_pack_b32_f16 v18, v21, v31
	v_fma_f16 v10, v51, s7, v10
	v_fma_f16 v23, v52, s7, -v23
	v_add_f16_e32 v36, v36, v47
	v_add_f16_e32 v37, v37, v48
	;; [unrolled: 1-line block ×4, first 2 shown]
	ds_write2_b32 v14, v15, v18 offset0:34 offset1:51
	v_pack_b32_f16 v15, v32, v33
	v_pack_b32_f16 v18, v34, v35
	v_add_f16_e32 v10, v10, v45
	v_add_f16_e32 v23, v23, v44
	ds_write2_b32 v14, v15, v18 offset0:68 offset1:85
	v_pack_b32_f16 v15, v36, v37
	v_pack_b32_f16 v16, v17, v16
	ds_write2_b32 v14, v15, v16 offset0:102 offset1:119
	v_pack_b32_f16 v15, v10, v23
	v_pack_b32_f16 v16, v11, v29
	;; [unrolled: 3-line block ×3, first 2 shown]
	ds_write2_b32 v14, v15, v16 offset0:170 offset1:187
	v_pack_b32_f16 v15, v8, v22
	v_add_u32_e32 v30, 0x680, v0
	v_add_u32_e32 v31, 0xd80, v0
	;; [unrolled: 1-line block ×3, first 2 shown]
	ds_write_b32 v14, v15 offset:816
	s_waitcnt lgkmcnt(0)
	s_barrier
	ds_read2_b32 v[14:15], v0 offset1:221
	ds_read2_b32 v[16:17], v30 offset0:26 offset1:247
	ds_read2_b32 v[18:19], v31 offset0:20 offset1:241
	;; [unrolled: 1-line block ×3, first 2 shown]
	s_movk_i32 s4, 0x55
	v_cmp_gt_u32_e32 vcc, s4, v5
	s_and_saveexec_b64 s[4:5], vcc
	s_cbranch_execz .LBB0_25
; %bb.24:
	v_add_u32_e32 v6, 0x200, v0
	ds_read2_b32 v[10:11], v6 offset0:8 offset1:229
	v_add_u32_e32 v6, 0x900, v0
	v_add_u32_e32 v7, 0xf80, v0
	ds_read2_b32 v[12:13], v6 offset0:2 offset1:223
	ds_read2_b32 v[8:9], v7 offset0:28 offset1:249
	v_add_u32_e32 v6, 0x1680, v0
	ds_read2_b32 v[6:7], v6 offset0:22 offset1:243
	s_waitcnt lgkmcnt(3)
	v_lshrrev_b32_e32 v23, 16, v10
	s_waitcnt lgkmcnt(2)
	v_lshrrev_b32_e32 v25, 16, v12
	v_lshrrev_b32_e32 v24, 16, v13
	s_waitcnt lgkmcnt(1)
	v_lshrrev_b32_e32 v22, 16, v8
	;; [unrolled: 3-line block ×3, first 2 shown]
	v_lshrrev_b32_e32 v28, 16, v7
	v_lshrrev_b32_e32 v29, 16, v11
.LBB0_25:
	s_or_b64 exec, exec, s[4:5]
	v_mul_u32_u24_e32 v33, 7, v5
	v_lshlrev_b32_e32 v40, 2, v33
	global_load_dwordx4 v[33:36], v40, s[12:13] offset:816
	global_load_dwordx3 v[37:39], v40, s[12:13] offset:832
	s_waitcnt lgkmcnt(0)
	v_lshrrev_b32_e32 v41, 16, v21
	v_lshrrev_b32_e32 v42, 16, v20
	v_lshrrev_b32_e32 v43, 16, v19
	v_lshrrev_b32_e32 v44, 16, v18
	v_lshrrev_b32_e32 v45, 16, v17
	v_lshrrev_b32_e32 v46, 16, v16
	v_lshrrev_b32_e32 v47, 16, v15
	v_lshrrev_b32_e32 v40, 16, v14
	s_mov_b32 s6, 0xb9a8
	s_movk_i32 s7, 0x39a8
	s_waitcnt vmcnt(0)
	s_barrier
	v_mul_f16_sdwa v48, v33, v47 dst_sel:DWORD dst_unused:UNUSED_PAD src0_sel:WORD_1 src1_sel:DWORD
	v_mul_f16_sdwa v49, v33, v15 dst_sel:DWORD dst_unused:UNUSED_PAD src0_sel:WORD_1 src1_sel:DWORD
	;; [unrolled: 1-line block ×14, first 2 shown]
	v_fma_f16 v15, v33, v15, -v48
	v_fma_f16 v33, v33, v47, v49
	v_fma_f16 v16, v34, v16, -v50
	v_fma_f16 v34, v34, v46, v51
	;; [unrolled: 2-line block ×7, first 2 shown]
	v_sub_f16_e32 v18, v14, v18
	v_sub_f16_e32 v36, v40, v36
	;; [unrolled: 1-line block ×8, first 2 shown]
	v_fma_f16 v14, v14, 2.0, -v18
	v_fma_f16 v40, v40, 2.0, -v36
	;; [unrolled: 1-line block ×8, first 2 shown]
	v_sub_f16_e32 v38, v18, v38
	v_add_f16_e32 v20, v36, v20
	v_sub_f16_e32 v39, v19, v39
	v_add_f16_e32 v21, v37, v21
	v_sub_f16_e32 v16, v14, v16
	v_sub_f16_e32 v34, v40, v34
	v_fma_f16 v18, v18, 2.0, -v38
	v_fma_f16 v36, v36, 2.0, -v20
	v_sub_f16_e32 v17, v15, v17
	v_sub_f16_e32 v35, v33, v35
	v_fma_f16 v19, v19, 2.0, -v39
	v_fma_f16 v37, v37, 2.0, -v21
	;; [unrolled: 1-line block ×6, first 2 shown]
	v_fma_f16 v43, v19, s6, v18
	v_fma_f16 v44, v37, s6, v36
	;; [unrolled: 1-line block ×4, first 2 shown]
	v_sub_f16_e32 v15, v14, v15
	v_sub_f16_e32 v33, v40, v33
	v_fma_f16 v37, v37, s6, v43
	v_fma_f16 v19, v19, s7, v44
	v_sub_f16_e32 v35, v16, v35
	v_add_f16_e32 v17, v34, v17
	v_fma_f16 v14, v14, 2.0, -v15
	v_fma_f16 v40, v40, 2.0, -v33
	;; [unrolled: 1-line block ×4, first 2 shown]
	v_fma_f16 v21, v21, s6, v41
	v_fma_f16 v39, v39, s7, v42
	v_fma_f16 v16, v16, 2.0, -v35
	v_fma_f16 v34, v34, 2.0, -v17
	;; [unrolled: 1-line block ×4, first 2 shown]
	v_pack_b32_f16 v14, v14, v40
	v_pack_b32_f16 v18, v18, v36
	ds_write2_b32 v0, v14, v18 offset1:221
	v_pack_b32_f16 v14, v16, v34
	v_pack_b32_f16 v16, v38, v20
	ds_write2_b32 v30, v14, v16 offset0:26 offset1:247
	v_pack_b32_f16 v14, v15, v33
	v_pack_b32_f16 v15, v37, v19
	ds_write2_b32 v31, v14, v15 offset0:20 offset1:241
	;; [unrolled: 3-line block ×3, first 2 shown]
	s_and_saveexec_b64 s[4:5], vcc
	s_cbranch_execz .LBB0_27
; %bb.26:
	v_add_u32_e32 v14, 0x88, v5
	v_add_u32_e32 v15, 0xffffffab, v5
	v_cndmask_b32_e32 v14, v15, v14, vcc
	v_mul_i32_i24_e32 v14, 7, v14
	v_mov_b32_e32 v15, 0
	v_lshlrev_b64 v[14:15], 2, v[14:15]
	v_mov_b32_e32 v16, s13
	v_add_co_u32_e32 v30, vcc, s12, v14
	v_addc_co_u32_e32 v31, vcc, v16, v15, vcc
	global_load_dwordx4 v[14:17], v[30:31], off offset:816
	global_load_dwordx3 v[18:20], v[30:31], off offset:832
	s_waitcnt vmcnt(1)
	v_mul_f16_sdwa v21, v22, v17 dst_sel:DWORD dst_unused:UNUSED_PAD src0_sel:DWORD src1_sel:WORD_1
	v_mul_f16_sdwa v30, v12, v15 dst_sel:DWORD dst_unused:UNUSED_PAD src0_sel:DWORD src1_sel:WORD_1
	s_waitcnt vmcnt(0)
	v_mul_f16_sdwa v31, v6, v19 dst_sel:DWORD dst_unused:UNUSED_PAD src0_sel:DWORD src1_sel:WORD_1
	v_mul_f16_sdwa v32, v29, v14 dst_sel:DWORD dst_unused:UNUSED_PAD src0_sel:DWORD src1_sel:WORD_1
	;; [unrolled: 1-line block ×12, first 2 shown]
	v_fma_f16 v8, v8, v17, -v21
	v_fma_f16 v21, v25, v15, v30
	v_fma_f16 v25, v27, v19, v31
	v_fma_f16 v11, v11, v14, -v32
	v_fma_f16 v9, v9, v18, -v33
	v_fma_f16 v24, v24, v16, v34
	v_fma_f16 v27, v28, v20, v35
	;; [unrolled: 1-line block ×4, first 2 shown]
	v_fma_f16 v13, v13, v16, -v38
	v_fma_f16 v7, v7, v20, -v39
	v_fma_f16 v16, v22, v17, v40
	v_fma_f16 v12, v12, v15, -v41
	v_fma_f16 v6, v6, v19, -v42
	v_sub_f16_e32 v8, v10, v8
	v_sub_f16_e32 v15, v21, v25
	;; [unrolled: 1-line block ×10, first 2 shown]
	v_add_f16_e32 v22, v18, v7
	v_add_f16_e32 v25, v16, v6
	v_fma_f16 v10, v10, 2.0, -v8
	v_fma_f16 v6, v12, 2.0, -v6
	;; [unrolled: 1-line block ×8, first 2 shown]
	v_fma_f16 v13, v20, s7, v19
	v_sub_f16_e32 v6, v10, v6
	v_sub_f16_e32 v14, v12, v14
	;; [unrolled: 1-line block ×4, first 2 shown]
	v_fma_f16 v8, v8, 2.0, -v19
	v_fma_f16 v9, v9, 2.0, -v20
	;; [unrolled: 1-line block ×4, first 2 shown]
	v_fma_f16 v21, v22, s7, v25
	v_fma_f16 v13, v22, s6, v13
	v_add_f16_e32 v22, v15, v7
	v_fma_f16 v23, v9, s6, v8
	v_fma_f16 v24, v18, s6, v16
	v_fma_f16 v10, v10, 2.0, -v6
	v_fma_f16 v7, v11, 2.0, -v7
	;; [unrolled: 1-line block ×4, first 2 shown]
	v_fma_f16 v18, v18, s6, v23
	v_fma_f16 v9, v9, s7, v24
	v_sub_f16_e32 v7, v10, v7
	v_sub_f16_e32 v12, v11, v12
	v_fma_f16 v20, v20, s7, v21
	v_sub_f16_e32 v21, v6, v14
	v_fma_f16 v8, v8, 2.0, -v18
	v_fma_f16 v16, v16, 2.0, -v9
	;; [unrolled: 1-line block ×8, first 2 shown]
	v_pack_b32_f16 v10, v10, v11
	v_pack_b32_f16 v8, v8, v16
	v_add_u32_e32 v11, 0x200, v0
	ds_write2_b32 v11, v10, v8 offset0:8 offset1:229
	v_pack_b32_f16 v6, v6, v15
	v_pack_b32_f16 v8, v14, v17
	v_add_u32_e32 v10, 0x900, v0
	ds_write2_b32 v10, v6, v8 offset0:2 offset1:223
	;; [unrolled: 4-line block ×4, first 2 shown]
.LBB0_27:
	s_or_b64 exec, exec, s[4:5]
	s_waitcnt lgkmcnt(0)
	s_barrier
	s_and_saveexec_b64 s[4:5], s[0:1]
	s_cbranch_execz .LBB0_29
; %bb.28:
	v_mul_lo_u32 v0, s3, v3
	v_mul_lo_u32 v6, s2, v4
	v_mad_u64_u32 v[3:4], s[0:1], s2, v3, 0
	v_lshl_add_u32 v9, v5, 2, 0
	ds_read2_b32 v[7:8], v9 offset1:136
	v_add3_u32 v4, v4, v6, v0
	v_lshlrev_b64 v[3:4], 2, v[3:4]
	v_mov_b32_e32 v0, s11
	v_add_co_u32_e32 v3, vcc, s10, v3
	v_addc_co_u32_e32 v4, vcc, v0, v4, vcc
	v_lshlrev_b64 v[0:1], 2, v[1:2]
	v_mov_b32_e32 v6, 0
	v_add_co_u32_e32 v10, vcc, v3, v0
	v_addc_co_u32_e32 v4, vcc, v4, v1, vcc
	v_lshlrev_b64 v[0:1], 2, v[5:6]
	v_add_u32_e32 v2, 0x400, v9
	v_add_co_u32_e32 v0, vcc, v10, v0
	v_addc_co_u32_e32 v1, vcc, v4, v1, vcc
	s_waitcnt lgkmcnt(0)
	global_store_dword v[0:1], v7, off
	v_add_u32_e32 v0, 0x88, v5
	v_mov_b32_e32 v1, v6
	v_lshlrev_b64 v[0:1], 2, v[0:1]
	ds_read2_b32 v[2:3], v2 offset0:16 offset1:152
	v_add_co_u32_e32 v0, vcc, v10, v0
	v_addc_co_u32_e32 v1, vcc, v4, v1, vcc
	global_store_dword v[0:1], v8, off
	v_add_u32_e32 v0, 0x110, v5
	v_mov_b32_e32 v1, v6
	v_lshlrev_b64 v[0:1], 2, v[0:1]
	v_add_co_u32_e32 v0, vcc, v10, v0
	v_addc_co_u32_e32 v1, vcc, v4, v1, vcc
	s_waitcnt lgkmcnt(0)
	global_store_dword v[0:1], v2, off
	v_add_u32_e32 v0, 0x198, v5
	v_mov_b32_e32 v1, v6
	v_lshlrev_b64 v[0:1], 2, v[0:1]
	v_add_u32_e32 v2, 0x800, v9
	v_add_co_u32_e32 v0, vcc, v10, v0
	v_addc_co_u32_e32 v1, vcc, v4, v1, vcc
	global_store_dword v[0:1], v3, off
	v_add_u32_e32 v0, 0x220, v5
	v_mov_b32_e32 v1, v6
	ds_read2_b32 v[2:3], v2 offset0:32 offset1:168
	v_lshlrev_b64 v[0:1], 2, v[0:1]
	v_add_co_u32_e32 v0, vcc, v10, v0
	v_addc_co_u32_e32 v1, vcc, v4, v1, vcc
	s_waitcnt lgkmcnt(0)
	global_store_dword v[0:1], v2, off
	v_add_u32_e32 v0, 0x2a8, v5
	v_mov_b32_e32 v1, v6
	v_lshlrev_b64 v[0:1], 2, v[0:1]
	v_add_u32_e32 v2, 0xc00, v9
	v_add_co_u32_e32 v0, vcc, v10, v0
	v_addc_co_u32_e32 v1, vcc, v4, v1, vcc
	global_store_dword v[0:1], v3, off
	v_add_u32_e32 v0, 0x330, v5
	v_mov_b32_e32 v1, v6
	ds_read2_b32 v[2:3], v2 offset0:48 offset1:184
	;; [unrolled: 15-line block ×4, first 2 shown]
	v_lshlrev_b64 v[0:1], 2, v[0:1]
	v_add_co_u32_e32 v0, vcc, v10, v0
	v_addc_co_u32_e32 v1, vcc, v4, v1, vcc
	s_waitcnt lgkmcnt(0)
	global_store_dword v[0:1], v2, off
	v_add_u32_e32 v0, 0x5d8, v5
	v_mov_b32_e32 v1, v6
	v_lshlrev_b64 v[0:1], 2, v[0:1]
	v_add_u32_e32 v5, 0x660, v5
	v_add_co_u32_e32 v0, vcc, v10, v0
	v_addc_co_u32_e32 v1, vcc, v4, v1, vcc
	ds_read_b32 v2, v9 offset:6528
	global_store_dword v[0:1], v3, off
	v_lshlrev_b64 v[0:1], 2, v[5:6]
	v_add_co_u32_e32 v0, vcc, v10, v0
	v_addc_co_u32_e32 v1, vcc, v4, v1, vcc
	s_waitcnt lgkmcnt(0)
	global_store_dword v[0:1], v2, off
.LBB0_29:
	s_endpgm
	.section	.rodata,"a",@progbits
	.p2align	6, 0x0
	.amdhsa_kernel fft_rtc_fwd_len1768_factors_17_13_8_wgs_136_tpt_136_halfLds_half_op_CI_CI_unitstride_sbrr_C2R_dirReg
		.amdhsa_group_segment_fixed_size 0
		.amdhsa_private_segment_fixed_size 0
		.amdhsa_kernarg_size 104
		.amdhsa_user_sgpr_count 6
		.amdhsa_user_sgpr_private_segment_buffer 1
		.amdhsa_user_sgpr_dispatch_ptr 0
		.amdhsa_user_sgpr_queue_ptr 0
		.amdhsa_user_sgpr_kernarg_segment_ptr 1
		.amdhsa_user_sgpr_dispatch_id 0
		.amdhsa_user_sgpr_flat_scratch_init 0
		.amdhsa_user_sgpr_private_segment_size 0
		.amdhsa_uses_dynamic_stack 0
		.amdhsa_system_sgpr_private_segment_wavefront_offset 0
		.amdhsa_system_sgpr_workgroup_id_x 1
		.amdhsa_system_sgpr_workgroup_id_y 0
		.amdhsa_system_sgpr_workgroup_id_z 0
		.amdhsa_system_sgpr_workgroup_info 0
		.amdhsa_system_vgpr_workitem_id 0
		.amdhsa_next_free_vgpr 159
		.amdhsa_next_free_sgpr 44
		.amdhsa_reserve_vcc 1
		.amdhsa_reserve_flat_scratch 0
		.amdhsa_float_round_mode_32 0
		.amdhsa_float_round_mode_16_64 0
		.amdhsa_float_denorm_mode_32 3
		.amdhsa_float_denorm_mode_16_64 3
		.amdhsa_dx10_clamp 1
		.amdhsa_ieee_mode 1
		.amdhsa_fp16_overflow 0
		.amdhsa_exception_fp_ieee_invalid_op 0
		.amdhsa_exception_fp_denorm_src 0
		.amdhsa_exception_fp_ieee_div_zero 0
		.amdhsa_exception_fp_ieee_overflow 0
		.amdhsa_exception_fp_ieee_underflow 0
		.amdhsa_exception_fp_ieee_inexact 0
		.amdhsa_exception_int_div_zero 0
	.end_amdhsa_kernel
	.text
.Lfunc_end0:
	.size	fft_rtc_fwd_len1768_factors_17_13_8_wgs_136_tpt_136_halfLds_half_op_CI_CI_unitstride_sbrr_C2R_dirReg, .Lfunc_end0-fft_rtc_fwd_len1768_factors_17_13_8_wgs_136_tpt_136_halfLds_half_op_CI_CI_unitstride_sbrr_C2R_dirReg
                                        ; -- End function
	.section	.AMDGPU.csdata,"",@progbits
; Kernel info:
; codeLenInByte = 13632
; NumSgprs: 48
; NumVgprs: 159
; ScratchSize: 0
; MemoryBound: 0
; FloatMode: 240
; IeeeMode: 1
; LDSByteSize: 0 bytes/workgroup (compile time only)
; SGPRBlocks: 5
; VGPRBlocks: 39
; NumSGPRsForWavesPerEU: 48
; NumVGPRsForWavesPerEU: 159
; Occupancy: 1
; WaveLimiterHint : 1
; COMPUTE_PGM_RSRC2:SCRATCH_EN: 0
; COMPUTE_PGM_RSRC2:USER_SGPR: 6
; COMPUTE_PGM_RSRC2:TRAP_HANDLER: 0
; COMPUTE_PGM_RSRC2:TGID_X_EN: 1
; COMPUTE_PGM_RSRC2:TGID_Y_EN: 0
; COMPUTE_PGM_RSRC2:TGID_Z_EN: 0
; COMPUTE_PGM_RSRC2:TIDIG_COMP_CNT: 0
	.type	__hip_cuid_9a2464902d143c9f,@object ; @__hip_cuid_9a2464902d143c9f
	.section	.bss,"aw",@nobits
	.globl	__hip_cuid_9a2464902d143c9f
__hip_cuid_9a2464902d143c9f:
	.byte	0                               ; 0x0
	.size	__hip_cuid_9a2464902d143c9f, 1

	.ident	"AMD clang version 19.0.0git (https://github.com/RadeonOpenCompute/llvm-project roc-6.4.0 25133 c7fe45cf4b819c5991fe208aaa96edf142730f1d)"
	.section	".note.GNU-stack","",@progbits
	.addrsig
	.addrsig_sym __hip_cuid_9a2464902d143c9f
	.amdgpu_metadata
---
amdhsa.kernels:
  - .args:
      - .actual_access:  read_only
        .address_space:  global
        .offset:         0
        .size:           8
        .value_kind:     global_buffer
      - .offset:         8
        .size:           8
        .value_kind:     by_value
      - .actual_access:  read_only
        .address_space:  global
        .offset:         16
        .size:           8
        .value_kind:     global_buffer
      - .actual_access:  read_only
        .address_space:  global
        .offset:         24
        .size:           8
        .value_kind:     global_buffer
      - .actual_access:  read_only
        .address_space:  global
        .offset:         32
        .size:           8
        .value_kind:     global_buffer
      - .offset:         40
        .size:           8
        .value_kind:     by_value
      - .actual_access:  read_only
        .address_space:  global
        .offset:         48
        .size:           8
        .value_kind:     global_buffer
      - .actual_access:  read_only
        .address_space:  global
        .offset:         56
        .size:           8
        .value_kind:     global_buffer
      - .offset:         64
        .size:           4
        .value_kind:     by_value
      - .actual_access:  read_only
        .address_space:  global
        .offset:         72
        .size:           8
        .value_kind:     global_buffer
      - .actual_access:  read_only
        .address_space:  global
        .offset:         80
        .size:           8
        .value_kind:     global_buffer
      - .actual_access:  read_only
        .address_space:  global
        .offset:         88
        .size:           8
        .value_kind:     global_buffer
      - .actual_access:  write_only
        .address_space:  global
        .offset:         96
        .size:           8
        .value_kind:     global_buffer
    .group_segment_fixed_size: 0
    .kernarg_segment_align: 8
    .kernarg_segment_size: 104
    .language:       OpenCL C
    .language_version:
      - 2
      - 0
    .max_flat_workgroup_size: 136
    .name:           fft_rtc_fwd_len1768_factors_17_13_8_wgs_136_tpt_136_halfLds_half_op_CI_CI_unitstride_sbrr_C2R_dirReg
    .private_segment_fixed_size: 0
    .sgpr_count:     48
    .sgpr_spill_count: 0
    .symbol:         fft_rtc_fwd_len1768_factors_17_13_8_wgs_136_tpt_136_halfLds_half_op_CI_CI_unitstride_sbrr_C2R_dirReg.kd
    .uniform_work_group_size: 1
    .uses_dynamic_stack: false
    .vgpr_count:     159
    .vgpr_spill_count: 0
    .wavefront_size: 64
amdhsa.target:   amdgcn-amd-amdhsa--gfx906
amdhsa.version:
  - 1
  - 2
...

	.end_amdgpu_metadata
